;; amdgpu-corpus repo=ROCm/rocFFT kind=compiled arch=gfx1201 opt=O3
	.text
	.amdgcn_target "amdgcn-amd-amdhsa--gfx1201"
	.amdhsa_code_object_version 6
	.protected	fft_rtc_fwd_len3200_factors_10_10_4_4_2_wgs_160_tpt_160_halfLds_half_op_CI_CI_unitstride_sbrr_C2R_dirReg ; -- Begin function fft_rtc_fwd_len3200_factors_10_10_4_4_2_wgs_160_tpt_160_halfLds_half_op_CI_CI_unitstride_sbrr_C2R_dirReg
	.globl	fft_rtc_fwd_len3200_factors_10_10_4_4_2_wgs_160_tpt_160_halfLds_half_op_CI_CI_unitstride_sbrr_C2R_dirReg
	.p2align	8
	.type	fft_rtc_fwd_len3200_factors_10_10_4_4_2_wgs_160_tpt_160_halfLds_half_op_CI_CI_unitstride_sbrr_C2R_dirReg,@function
fft_rtc_fwd_len3200_factors_10_10_4_4_2_wgs_160_tpt_160_halfLds_half_op_CI_CI_unitstride_sbrr_C2R_dirReg: ; @fft_rtc_fwd_len3200_factors_10_10_4_4_2_wgs_160_tpt_160_halfLds_half_op_CI_CI_unitstride_sbrr_C2R_dirReg
; %bb.0:
	s_clause 0x2
	s_load_b128 s[8:11], s[0:1], 0x0
	s_load_b128 s[4:7], s[0:1], 0x58
	;; [unrolled: 1-line block ×3, first 2 shown]
	v_mul_u32_u24_e32 v1, 0x19a, v0
	v_mov_b32_e32 v3, 0
	s_delay_alu instid0(VALU_DEP_2) | instskip(NEXT) | instid1(VALU_DEP_1)
	v_lshrrev_b32_e32 v1, 16, v1
	v_add_nc_u32_e32 v5, ttmp9, v1
	v_mov_b32_e32 v1, 0
	v_mov_b32_e32 v2, 0
	;; [unrolled: 1-line block ×3, first 2 shown]
	s_wait_kmcnt 0x0
	v_cmp_lt_u64_e64 s2, s[10:11], 2
	s_delay_alu instid0(VALU_DEP_1)
	s_and_b32 vcc_lo, exec_lo, s2
	s_cbranch_vccnz .LBB0_8
; %bb.1:
	s_load_b64 s[2:3], s[0:1], 0x10
	v_mov_b32_e32 v1, 0
	v_mov_b32_e32 v2, 0
	s_add_nc_u64 s[16:17], s[14:15], 8
	s_add_nc_u64 s[18:19], s[12:13], 8
	s_mov_b64 s[20:21], 1
	s_delay_alu instid0(VALU_DEP_1)
	v_dual_mov_b32 v17, v2 :: v_dual_mov_b32 v16, v1
	s_wait_kmcnt 0x0
	s_add_nc_u64 s[22:23], s[2:3], 8
	s_mov_b32 s3, 0
.LBB0_2:                                ; =>This Inner Loop Header: Depth=1
	s_load_b64 s[24:25], s[22:23], 0x0
                                        ; implicit-def: $vgpr20_vgpr21
	s_mov_b32 s2, exec_lo
	s_wait_kmcnt 0x0
	v_or_b32_e32 v4, s25, v6
	s_delay_alu instid0(VALU_DEP_1)
	v_cmpx_ne_u64_e32 0, v[3:4]
	s_wait_alu 0xfffe
	s_xor_b32 s26, exec_lo, s2
	s_cbranch_execz .LBB0_4
; %bb.3:                                ;   in Loop: Header=BB0_2 Depth=1
	s_cvt_f32_u32 s2, s24
	s_cvt_f32_u32 s27, s25
	s_sub_nc_u64 s[30:31], 0, s[24:25]
	s_wait_alu 0xfffe
	s_delay_alu instid0(SALU_CYCLE_1) | instskip(SKIP_1) | instid1(SALU_CYCLE_2)
	s_fmamk_f32 s2, s27, 0x4f800000, s2
	s_wait_alu 0xfffe
	v_s_rcp_f32 s2, s2
	s_delay_alu instid0(TRANS32_DEP_1) | instskip(SKIP_1) | instid1(SALU_CYCLE_2)
	s_mul_f32 s2, s2, 0x5f7ffffc
	s_wait_alu 0xfffe
	s_mul_f32 s27, s2, 0x2f800000
	s_wait_alu 0xfffe
	s_delay_alu instid0(SALU_CYCLE_2) | instskip(SKIP_1) | instid1(SALU_CYCLE_2)
	s_trunc_f32 s27, s27
	s_wait_alu 0xfffe
	s_fmamk_f32 s2, s27, 0xcf800000, s2
	s_cvt_u32_f32 s29, s27
	s_wait_alu 0xfffe
	s_delay_alu instid0(SALU_CYCLE_1) | instskip(SKIP_1) | instid1(SALU_CYCLE_2)
	s_cvt_u32_f32 s28, s2
	s_wait_alu 0xfffe
	s_mul_u64 s[34:35], s[30:31], s[28:29]
	s_wait_alu 0xfffe
	s_mul_hi_u32 s37, s28, s35
	s_mul_i32 s36, s28, s35
	s_mul_hi_u32 s2, s28, s34
	s_mul_i32 s33, s29, s34
	s_wait_alu 0xfffe
	s_add_nc_u64 s[36:37], s[2:3], s[36:37]
	s_mul_hi_u32 s27, s29, s34
	s_mul_hi_u32 s38, s29, s35
	s_add_co_u32 s2, s36, s33
	s_wait_alu 0xfffe
	s_add_co_ci_u32 s2, s37, s27
	s_mul_i32 s34, s29, s35
	s_add_co_ci_u32 s35, s38, 0
	s_wait_alu 0xfffe
	s_add_nc_u64 s[34:35], s[2:3], s[34:35]
	s_wait_alu 0xfffe
	v_add_co_u32 v4, s2, s28, s34
	s_delay_alu instid0(VALU_DEP_1) | instskip(SKIP_1) | instid1(VALU_DEP_1)
	s_cmp_lg_u32 s2, 0
	s_add_co_ci_u32 s29, s29, s35
	v_readfirstlane_b32 s28, v4
	s_wait_alu 0xfffe
	s_delay_alu instid0(VALU_DEP_1)
	s_mul_u64 s[30:31], s[30:31], s[28:29]
	s_wait_alu 0xfffe
	s_mul_hi_u32 s35, s28, s31
	s_mul_i32 s34, s28, s31
	s_mul_hi_u32 s2, s28, s30
	s_mul_i32 s33, s29, s30
	s_wait_alu 0xfffe
	s_add_nc_u64 s[34:35], s[2:3], s[34:35]
	s_mul_hi_u32 s27, s29, s30
	s_mul_hi_u32 s28, s29, s31
	s_wait_alu 0xfffe
	s_add_co_u32 s2, s34, s33
	s_add_co_ci_u32 s2, s35, s27
	s_mul_i32 s30, s29, s31
	s_add_co_ci_u32 s31, s28, 0
	s_wait_alu 0xfffe
	s_add_nc_u64 s[30:31], s[2:3], s[30:31]
	s_wait_alu 0xfffe
	v_add_co_u32 v4, s2, v4, s30
	s_delay_alu instid0(VALU_DEP_1) | instskip(SKIP_1) | instid1(VALU_DEP_1)
	s_cmp_lg_u32 s2, 0
	s_add_co_ci_u32 s2, s29, s31
	v_mul_hi_u32 v13, v5, v4
	s_wait_alu 0xfffe
	v_mad_co_u64_u32 v[7:8], null, v5, s2, 0
	v_mad_co_u64_u32 v[9:10], null, v6, v4, 0
	;; [unrolled: 1-line block ×3, first 2 shown]
	s_delay_alu instid0(VALU_DEP_3) | instskip(SKIP_1) | instid1(VALU_DEP_4)
	v_add_co_u32 v4, vcc_lo, v13, v7
	s_wait_alu 0xfffd
	v_add_co_ci_u32_e32 v7, vcc_lo, 0, v8, vcc_lo
	s_delay_alu instid0(VALU_DEP_2) | instskip(SKIP_1) | instid1(VALU_DEP_2)
	v_add_co_u32 v4, vcc_lo, v4, v9
	s_wait_alu 0xfffd
	v_add_co_ci_u32_e32 v4, vcc_lo, v7, v10, vcc_lo
	s_wait_alu 0xfffd
	v_add_co_ci_u32_e32 v7, vcc_lo, 0, v12, vcc_lo
	s_delay_alu instid0(VALU_DEP_2) | instskip(SKIP_1) | instid1(VALU_DEP_2)
	v_add_co_u32 v4, vcc_lo, v4, v11
	s_wait_alu 0xfffd
	v_add_co_ci_u32_e32 v9, vcc_lo, 0, v7, vcc_lo
	s_delay_alu instid0(VALU_DEP_2) | instskip(SKIP_1) | instid1(VALU_DEP_3)
	v_mul_lo_u32 v10, s25, v4
	v_mad_co_u64_u32 v[7:8], null, s24, v4, 0
	v_mul_lo_u32 v11, s24, v9
	s_delay_alu instid0(VALU_DEP_2) | instskip(NEXT) | instid1(VALU_DEP_2)
	v_sub_co_u32 v7, vcc_lo, v5, v7
	v_add3_u32 v8, v8, v11, v10
	s_delay_alu instid0(VALU_DEP_1) | instskip(SKIP_1) | instid1(VALU_DEP_1)
	v_sub_nc_u32_e32 v10, v6, v8
	s_wait_alu 0xfffd
	v_subrev_co_ci_u32_e64 v10, s2, s25, v10, vcc_lo
	v_add_co_u32 v11, s2, v4, 2
	s_wait_alu 0xf1ff
	v_add_co_ci_u32_e64 v12, s2, 0, v9, s2
	v_sub_co_u32 v13, s2, v7, s24
	v_sub_co_ci_u32_e32 v8, vcc_lo, v6, v8, vcc_lo
	s_wait_alu 0xf1ff
	v_subrev_co_ci_u32_e64 v10, s2, 0, v10, s2
	s_delay_alu instid0(VALU_DEP_3) | instskip(NEXT) | instid1(VALU_DEP_3)
	v_cmp_le_u32_e32 vcc_lo, s24, v13
	v_cmp_eq_u32_e64 s2, s25, v8
	s_wait_alu 0xfffd
	v_cndmask_b32_e64 v13, 0, -1, vcc_lo
	v_cmp_le_u32_e32 vcc_lo, s25, v10
	s_wait_alu 0xfffd
	v_cndmask_b32_e64 v14, 0, -1, vcc_lo
	v_cmp_le_u32_e32 vcc_lo, s24, v7
	;; [unrolled: 3-line block ×3, first 2 shown]
	s_wait_alu 0xfffd
	v_cndmask_b32_e64 v15, 0, -1, vcc_lo
	v_cmp_eq_u32_e32 vcc_lo, s25, v10
	s_wait_alu 0xf1ff
	s_delay_alu instid0(VALU_DEP_2)
	v_cndmask_b32_e64 v7, v15, v7, s2
	s_wait_alu 0xfffd
	v_cndmask_b32_e32 v10, v14, v13, vcc_lo
	v_add_co_u32 v13, vcc_lo, v4, 1
	s_wait_alu 0xfffd
	v_add_co_ci_u32_e32 v14, vcc_lo, 0, v9, vcc_lo
	s_delay_alu instid0(VALU_DEP_3) | instskip(SKIP_1) | instid1(VALU_DEP_2)
	v_cmp_ne_u32_e32 vcc_lo, 0, v10
	s_wait_alu 0xfffd
	v_cndmask_b32_e32 v8, v14, v12, vcc_lo
	v_cndmask_b32_e32 v10, v13, v11, vcc_lo
	v_cmp_ne_u32_e32 vcc_lo, 0, v7
	s_wait_alu 0xfffd
	s_delay_alu instid0(VALU_DEP_2)
	v_dual_cndmask_b32 v21, v9, v8 :: v_dual_cndmask_b32 v20, v4, v10
.LBB0_4:                                ;   in Loop: Header=BB0_2 Depth=1
	s_wait_alu 0xfffe
	s_and_not1_saveexec_b32 s2, s26
	s_cbranch_execz .LBB0_6
; %bb.5:                                ;   in Loop: Header=BB0_2 Depth=1
	v_cvt_f32_u32_e32 v4, s24
	s_sub_co_i32 s26, 0, s24
	v_mov_b32_e32 v21, v3
	s_delay_alu instid0(VALU_DEP_2) | instskip(NEXT) | instid1(TRANS32_DEP_1)
	v_rcp_iflag_f32_e32 v4, v4
	v_mul_f32_e32 v4, 0x4f7ffffe, v4
	s_delay_alu instid0(VALU_DEP_1) | instskip(SKIP_1) | instid1(VALU_DEP_1)
	v_cvt_u32_f32_e32 v4, v4
	s_wait_alu 0xfffe
	v_mul_lo_u32 v7, s26, v4
	s_delay_alu instid0(VALU_DEP_1) | instskip(NEXT) | instid1(VALU_DEP_1)
	v_mul_hi_u32 v7, v4, v7
	v_add_nc_u32_e32 v4, v4, v7
	s_delay_alu instid0(VALU_DEP_1) | instskip(NEXT) | instid1(VALU_DEP_1)
	v_mul_hi_u32 v4, v5, v4
	v_mul_lo_u32 v7, v4, s24
	v_add_nc_u32_e32 v8, 1, v4
	s_delay_alu instid0(VALU_DEP_2) | instskip(NEXT) | instid1(VALU_DEP_1)
	v_sub_nc_u32_e32 v7, v5, v7
	v_subrev_nc_u32_e32 v9, s24, v7
	v_cmp_le_u32_e32 vcc_lo, s24, v7
	s_wait_alu 0xfffd
	s_delay_alu instid0(VALU_DEP_2) | instskip(NEXT) | instid1(VALU_DEP_1)
	v_dual_cndmask_b32 v7, v7, v9 :: v_dual_cndmask_b32 v4, v4, v8
	v_cmp_le_u32_e32 vcc_lo, s24, v7
	s_delay_alu instid0(VALU_DEP_2) | instskip(SKIP_1) | instid1(VALU_DEP_1)
	v_add_nc_u32_e32 v8, 1, v4
	s_wait_alu 0xfffd
	v_cndmask_b32_e32 v20, v4, v8, vcc_lo
.LBB0_6:                                ;   in Loop: Header=BB0_2 Depth=1
	s_wait_alu 0xfffe
	s_or_b32 exec_lo, exec_lo, s2
	v_mul_lo_u32 v4, v21, s24
	s_delay_alu instid0(VALU_DEP_2)
	v_mul_lo_u32 v9, v20, s25
	s_load_b64 s[26:27], s[18:19], 0x0
	v_mad_co_u64_u32 v[7:8], null, v20, s24, 0
	s_load_b64 s[24:25], s[16:17], 0x0
	s_add_nc_u64 s[20:21], s[20:21], 1
	s_add_nc_u64 s[16:17], s[16:17], 8
	s_wait_alu 0xfffe
	v_cmp_ge_u64_e64 s2, s[20:21], s[10:11]
	s_add_nc_u64 s[18:19], s[18:19], 8
	s_add_nc_u64 s[22:23], s[22:23], 8
	v_add3_u32 v4, v8, v9, v4
	v_sub_co_u32 v5, vcc_lo, v5, v7
	s_wait_alu 0xfffd
	s_delay_alu instid0(VALU_DEP_2) | instskip(SKIP_2) | instid1(VALU_DEP_1)
	v_sub_co_ci_u32_e32 v4, vcc_lo, v6, v4, vcc_lo
	s_and_b32 vcc_lo, exec_lo, s2
	s_wait_kmcnt 0x0
	v_mul_lo_u32 v6, s26, v4
	v_mul_lo_u32 v7, s27, v5
	v_mad_co_u64_u32 v[1:2], null, s26, v5, v[1:2]
	v_mul_lo_u32 v4, s24, v4
	v_mul_lo_u32 v8, s25, v5
	v_mad_co_u64_u32 v[16:17], null, s24, v5, v[16:17]
	s_delay_alu instid0(VALU_DEP_4) | instskip(NEXT) | instid1(VALU_DEP_2)
	v_add3_u32 v2, v7, v2, v6
	v_add3_u32 v17, v8, v17, v4
	s_wait_alu 0xfffe
	s_cbranch_vccnz .LBB0_9
; %bb.7:                                ;   in Loop: Header=BB0_2 Depth=1
	v_dual_mov_b32 v5, v20 :: v_dual_mov_b32 v6, v21
	s_branch .LBB0_2
.LBB0_8:
	v_dual_mov_b32 v17, v2 :: v_dual_mov_b32 v16, v1
	v_dual_mov_b32 v21, v6 :: v_dual_mov_b32 v20, v5
.LBB0_9:
	s_load_b64 s[0:1], s[0:1], 0x28
	v_mul_hi_u32 v5, 0x199999a, v0
	s_lshl_b64 s[10:11], s[10:11], 3
                                        ; implicit-def: $vgpr18
                                        ; implicit-def: $vgpr3_vgpr4
	s_wait_alu 0xfffe
	s_add_nc_u64 s[2:3], s[14:15], s[10:11]
	s_wait_kmcnt 0x0
	v_cmp_gt_u64_e32 vcc_lo, s[0:1], v[20:21]
	v_cmp_le_u64_e64 s0, s[0:1], v[20:21]
	s_delay_alu instid0(VALU_DEP_1)
	s_and_saveexec_b32 s1, s0
	s_wait_alu 0xfffe
	s_xor_b32 s0, exec_lo, s1
; %bb.10:
	v_mul_u32_u24_e32 v1, 0xa0, v5
	v_mov_b32_e32 v19, 0
                                        ; implicit-def: $vgpr5
	s_delay_alu instid0(VALU_DEP_2) | instskip(NEXT) | instid1(VALU_DEP_1)
	v_sub_nc_u32_e32 v18, v0, v1
                                        ; implicit-def: $vgpr0
                                        ; implicit-def: $vgpr1_vgpr2
	v_dual_mov_b32 v3, v18 :: v_dual_mov_b32 v4, v19
; %bb.11:
	s_wait_alu 0xfffe
	s_or_saveexec_b32 s1, s0
	s_load_b64 s[2:3], s[2:3], 0x0
	s_xor_b32 exec_lo, exec_lo, s1
	s_cbranch_execz .LBB0_15
; %bb.12:
	s_add_nc_u64 s[10:11], s[12:13], s[10:11]
	v_mul_u32_u24_e32 v5, 0xa0, v5
	s_load_b64 s[10:11], s[10:11], 0x0
	v_lshlrev_b64_e32 v[1:2], 2, v[1:2]
	v_mov_b32_e32 v19, 0
	s_delay_alu instid0(VALU_DEP_3) | instskip(SKIP_4) | instid1(VALU_DEP_1)
	v_sub_nc_u32_e32 v18, v0, v5
	s_wait_kmcnt 0x0
	v_mul_lo_u32 v6, s11, v20
	v_mul_lo_u32 v7, s10, v21
	v_mad_co_u64_u32 v[3:4], null, s10, v20, 0
	v_add3_u32 v4, v4, v7, v6
	s_delay_alu instid0(VALU_DEP_1) | instskip(NEXT) | instid1(VALU_DEP_1)
	v_lshlrev_b64_e32 v[3:4], 2, v[3:4]
	v_add_co_u32 v0, s0, s4, v3
	s_wait_alu 0xf1ff
	s_delay_alu instid0(VALU_DEP_2) | instskip(SKIP_1) | instid1(VALU_DEP_3)
	v_add_co_ci_u32_e64 v3, s0, s5, v4, s0
	v_lshlrev_b32_e32 v4, 2, v18
	v_add_co_u32 v0, s0, v0, v1
	s_wait_alu 0xf1ff
	s_delay_alu instid0(VALU_DEP_3) | instskip(NEXT) | instid1(VALU_DEP_3)
	v_add_co_ci_u32_e64 v1, s0, v3, v2, s0
	v_add_nc_u32_e32 v30, 0, v4
	s_delay_alu instid0(VALU_DEP_3) | instskip(SKIP_1) | instid1(VALU_DEP_3)
	v_add_co_u32 v2, s0, v0, v4
	s_wait_alu 0xf1ff
	v_add_co_ci_u32_e64 v3, s0, 0, v1, s0
	v_cmp_eq_u32_e64 s0, 0x9f, v18
	s_clause 0x13
	global_load_b32 v5, v[2:3], off
	global_load_b32 v6, v[2:3], off offset:640
	global_load_b32 v7, v[2:3], off offset:1280
	;; [unrolled: 1-line block ×19, first 2 shown]
	v_dual_mov_b32 v3, v18 :: v_dual_mov_b32 v4, v19
	v_add_nc_u32_e32 v31, 0x400, v30
	v_add_nc_u32_e32 v32, 0xa00, v30
	;; [unrolled: 1-line block ×9, first 2 shown]
	s_wait_loadcnt 0x12
	ds_store_2addr_b32 v30, v5, v6 offset1:160
	s_wait_loadcnt 0x10
	ds_store_2addr_b32 v31, v7, v8 offset0:64 offset1:224
	s_wait_loadcnt 0xe
	ds_store_2addr_b32 v32, v9, v10 offset1:160
	s_wait_loadcnt 0xc
	ds_store_2addr_b32 v33, v11, v12 offset0:64 offset1:224
	;; [unrolled: 4-line block ×5, first 2 shown]
	s_and_saveexec_b32 s4, s0
	s_cbranch_execz .LBB0_14
; %bb.13:
	global_load_b32 v0, v[0:1], off offset:12800
	v_dual_mov_b32 v3, 0x9f :: v_dual_mov_b32 v18, 0x9f
	v_mov_b32_e32 v4, 0
	s_wait_loadcnt 0x0
	ds_store_b32 v19, v0 offset:12800
.LBB0_14:
	s_wait_alu 0xfffe
	s_or_b32 exec_lo, exec_lo, s4
.LBB0_15:
	s_delay_alu instid0(SALU_CYCLE_1)
	s_or_b32 exec_lo, exec_lo, s1
	v_lshlrev_b32_e32 v0, 2, v18
	global_wb scope:SCOPE_SE
	s_wait_dscnt 0x0
	s_wait_kmcnt 0x0
	s_barrier_signal -1
	s_barrier_wait -1
	global_inv scope:SCOPE_SE
	v_add_nc_u32_e32 v26, 0, v0
	v_sub_nc_u32_e32 v0, 0, v0
	v_lshlrev_b64_e32 v[22:23], 2, v[3:4]
	s_mov_b32 s1, exec_lo
	ds_load_u16 v5, v26
	ds_load_u16 v6, v0 offset:12800
	s_wait_dscnt 0x0
	v_add_f16_e32 v1, v6, v5
	v_sub_f16_e32 v2, v5, v6
	v_cmpx_ne_u32_e32 0, v18
	s_wait_alu 0xfffe
	s_xor_b32 s1, exec_lo, s1
	s_cbranch_execz .LBB0_17
; %bb.16:
	v_add_co_u32 v1, s0, s8, v22
	s_wait_alu 0xf1ff
	v_add_co_ci_u32_e64 v2, s0, s9, v23, s0
	v_add_f16_e32 v4, v6, v5
	v_sub_f16_e32 v5, v5, v6
	global_load_b32 v3, v[1:2], off offset:12760
	ds_load_u16 v1, v0 offset:12802
	ds_load_u16 v2, v26 offset:2
	s_wait_dscnt 0x0
	v_add_f16_e32 v6, v1, v2
	v_sub_f16_e32 v1, v2, v1
	s_wait_loadcnt 0x0
	v_lshrrev_b32_e32 v7, 16, v3
	s_delay_alu instid0(VALU_DEP_1) | instskip(NEXT) | instid1(VALU_DEP_3)
	v_fma_f16 v8, -v5, v7, v4
	v_fma_f16 v9, v6, v7, -v1
	v_fma_f16 v4, v5, v7, v4
	v_fma_f16 v2, v6, v7, v1
	s_delay_alu instid0(VALU_DEP_4) | instskip(NEXT) | instid1(VALU_DEP_4)
	v_fmac_f16_e32 v8, v3, v6
	v_fmac_f16_e32 v9, v5, v3
	s_delay_alu instid0(VALU_DEP_4) | instskip(NEXT) | instid1(VALU_DEP_4)
	v_fma_f16 v1, -v3, v6, v4
	v_fmac_f16_e32 v2, v5, v3
	s_delay_alu instid0(VALU_DEP_3)
	v_pack_b32_f16 v4, v8, v9
	ds_store_b32 v0, v4 offset:12800
.LBB0_17:
	s_wait_alu 0xfffe
	s_and_not1_saveexec_b32 s0, s1
	s_cbranch_execz .LBB0_19
; %bb.18:
	v_mov_b32_e32 v3, 0
	ds_load_b32 v4, v3 offset:6400
	s_wait_dscnt 0x0
	v_pk_mul_f16 v4, 0xc0004000, v4
	ds_store_b32 v3, v4 offset:6400
.LBB0_19:
	s_wait_alu 0xfffe
	s_or_b32 exec_lo, exec_lo, s0
	v_mov_b32_e32 v19, 0
	s_add_nc_u64 s[0:1], s[8:9], 0x31d8
	v_perm_b32 v1, v2, v1, 0x5040100
	v_add_nc_u32_e32 v36, 0xa0, v18
	v_add_nc_u32_e32 v30, 0x1e00, v26
	v_lshlrev_b64_e32 v[24:25], 2, v[18:19]
	v_add_nc_u32_e32 v35, 0x1800, v26
	v_add_nc_u32_e32 v34, 0x2200, v26
	;; [unrolled: 1-line block ×5, first 2 shown]
	s_wait_alu 0xfffe
	v_add_co_u32 v3, s0, s0, v24
	s_wait_alu 0xf1ff
	v_add_co_ci_u32_e64 v4, s0, s1, v25, s0
	v_cmp_gt_u32_e64 s0, 0x64, v18
	s_clause 0x6
	global_load_b32 v5, v[3:4], off offset:640
	global_load_b32 v6, v[3:4], off offset:1280
	;; [unrolled: 1-line block ×7, first 2 shown]
	ds_store_b32 v26, v1
	ds_load_b32 v1, v26 offset:640
	ds_load_b32 v11, v0 offset:12160
	global_load_b32 v14, v[3:4], off offset:5120
	s_wait_dscnt 0x1
	v_lshrrev_b32_e32 v12, 16, v1
	s_wait_dscnt 0x0
	v_lshrrev_b32_e32 v13, 16, v11
	v_add_f16_e32 v15, v1, v11
	v_sub_f16_e32 v1, v1, v11
	s_delay_alu instid0(VALU_DEP_3) | instskip(SKIP_3) | instid1(VALU_DEP_1)
	v_add_f16_e32 v11, v13, v12
	v_sub_f16_e32 v12, v12, v13
	s_wait_loadcnt 0x7
	v_lshrrev_b32_e32 v27, 16, v5
	v_fma_f16 v13, v1, v27, v15
	s_delay_alu instid0(VALU_DEP_3) | instskip(SKIP_2) | instid1(VALU_DEP_4)
	v_fma_f16 v28, v11, v27, v12
	v_fma_f16 v15, -v1, v27, v15
	v_fma_f16 v12, v11, v27, -v12
	v_fma_f16 v13, -v5, v11, v13
	s_delay_alu instid0(VALU_DEP_4) | instskip(NEXT) | instid1(VALU_DEP_4)
	v_fmac_f16_e32 v28, v1, v5
	v_fmac_f16_e32 v15, v5, v11
	s_delay_alu instid0(VALU_DEP_4) | instskip(NEXT) | instid1(VALU_DEP_3)
	v_fmac_f16_e32 v12, v1, v5
	v_pack_b32_f16 v1, v13, v28
	v_add_nc_u32_e32 v28, 0x1400, v26
	s_delay_alu instid0(VALU_DEP_3)
	v_pack_b32_f16 v5, v15, v12
	s_wait_loadcnt 0x6
	v_lshrrev_b32_e32 v13, 16, v6
	ds_store_b32 v26, v1 offset:640
	ds_store_b32 v0, v5 offset:12160
	ds_load_b32 v1, v26 offset:1280
	ds_load_b32 v5, v0 offset:11520
	v_add_nc_u32_e32 v29, 0x2800, v26
	s_wait_dscnt 0x1
	v_lshrrev_b32_e32 v11, 16, v1
	s_wait_dscnt 0x0
	v_lshrrev_b32_e32 v12, 16, v5
	v_add_f16_e32 v15, v1, v5
	v_sub_f16_e32 v1, v1, v5
	s_delay_alu instid0(VALU_DEP_3) | instskip(SKIP_1) | instid1(VALU_DEP_3)
	v_add_f16_e32 v5, v12, v11
	v_sub_f16_e32 v11, v11, v12
	v_fma_f16 v12, v1, v13, v15
	v_fma_f16 v15, -v1, v13, v15
	s_delay_alu instid0(VALU_DEP_3) | instskip(SKIP_1) | instid1(VALU_DEP_4)
	v_fma_f16 v27, v5, v13, v11
	v_fma_f16 v11, v5, v13, -v11
	v_fma_f16 v12, -v6, v5, v12
	s_delay_alu instid0(VALU_DEP_4) | instskip(NEXT) | instid1(VALU_DEP_4)
	v_fmac_f16_e32 v15, v6, v5
	v_fmac_f16_e32 v27, v1, v6
	s_delay_alu instid0(VALU_DEP_4)
	v_fmac_f16_e32 v11, v1, v6
	global_load_b32 v1, v[3:4], off offset:5760
	v_pack_b32_f16 v5, v12, v27
	v_pack_b32_f16 v6, v15, v11
	ds_store_b32 v26, v5 offset:1280
	ds_store_b32 v0, v6 offset:11520
	ds_load_b32 v3, v26 offset:1920
	ds_load_b32 v4, v0 offset:10880
	s_wait_loadcnt 0x6
	v_lshrrev_b32_e32 v11, 16, v7
	v_add_nc_u32_e32 v27, 0xa00, v26
	s_wait_dscnt 0x1
	v_lshrrev_b32_e32 v5, 16, v3
	s_wait_dscnt 0x0
	v_lshrrev_b32_e32 v6, 16, v4
	v_add_f16_e32 v12, v3, v4
	v_sub_f16_e32 v3, v3, v4
	s_delay_alu instid0(VALU_DEP_3) | instskip(SKIP_1) | instid1(VALU_DEP_3)
	v_add_f16_e32 v4, v6, v5
	v_sub_f16_e32 v5, v5, v6
	v_fma_f16 v6, v3, v11, v12
	v_fma_f16 v12, -v3, v11, v12
	s_delay_alu instid0(VALU_DEP_3) | instskip(SKIP_1) | instid1(VALU_DEP_4)
	v_fma_f16 v13, v4, v11, v5
	v_fma_f16 v5, v4, v11, -v5
	v_fma_f16 v6, -v7, v4, v6
	s_delay_alu instid0(VALU_DEP_4) | instskip(NEXT) | instid1(VALU_DEP_4)
	v_fmac_f16_e32 v12, v7, v4
	v_fmac_f16_e32 v13, v3, v7
	s_delay_alu instid0(VALU_DEP_4) | instskip(SKIP_2) | instid1(VALU_DEP_3)
	v_fmac_f16_e32 v5, v3, v7
	s_wait_loadcnt 0x5
	v_lshrrev_b32_e32 v7, 16, v8
	v_pack_b32_f16 v3, v6, v13
	s_delay_alu instid0(VALU_DEP_3)
	v_pack_b32_f16 v4, v12, v5
	ds_store_b32 v26, v3 offset:1920
	ds_store_b32 v0, v4 offset:10880
	ds_load_b32 v3, v26 offset:2560
	ds_load_b32 v4, v0 offset:10240
	s_wait_dscnt 0x1
	v_lshrrev_b32_e32 v5, 16, v3
	s_wait_dscnt 0x0
	v_lshrrev_b32_e32 v6, 16, v4
	v_add_f16_e32 v11, v3, v4
	v_sub_f16_e32 v3, v3, v4
	s_delay_alu instid0(VALU_DEP_3) | instskip(SKIP_1) | instid1(VALU_DEP_3)
	v_add_f16_e32 v4, v6, v5
	v_sub_f16_e32 v5, v5, v6
	v_fma_f16 v6, v3, v7, v11
	v_fma_f16 v11, -v3, v7, v11
	s_delay_alu instid0(VALU_DEP_3) | instskip(SKIP_1) | instid1(VALU_DEP_4)
	v_fma_f16 v12, v4, v7, v5
	v_fma_f16 v5, v4, v7, -v5
	v_fma_f16 v6, -v8, v4, v6
	s_delay_alu instid0(VALU_DEP_4) | instskip(SKIP_4) | instid1(VALU_DEP_2)
	v_fmac_f16_e32 v11, v8, v4
	s_wait_loadcnt 0x4
	v_lshrrev_b32_e32 v7, 16, v9
	v_fmac_f16_e32 v12, v3, v8
	v_fmac_f16_e32 v5, v3, v8
	v_pack_b32_f16 v3, v6, v12
	s_delay_alu instid0(VALU_DEP_2)
	v_pack_b32_f16 v4, v11, v5
	ds_store_b32 v26, v3 offset:2560
	ds_store_b32 v0, v4 offset:10240
	ds_load_b32 v3, v26 offset:3200
	ds_load_b32 v4, v0 offset:9600
	s_wait_dscnt 0x1
	v_lshrrev_b32_e32 v5, 16, v3
	s_wait_dscnt 0x0
	v_lshrrev_b32_e32 v6, 16, v4
	v_add_f16_e32 v8, v3, v4
	v_sub_f16_e32 v3, v3, v4
	s_delay_alu instid0(VALU_DEP_3) | instskip(SKIP_1) | instid1(VALU_DEP_3)
	v_add_f16_e32 v4, v6, v5
	v_sub_f16_e32 v5, v5, v6
	v_fma_f16 v6, v3, v7, v8
	v_fma_f16 v8, -v3, v7, v8
	s_delay_alu instid0(VALU_DEP_3) | instskip(SKIP_1) | instid1(VALU_DEP_4)
	v_fma_f16 v11, v4, v7, v5
	v_fma_f16 v5, v4, v7, -v5
	v_fma_f16 v6, -v9, v4, v6
	s_delay_alu instid0(VALU_DEP_4) | instskip(SKIP_4) | instid1(VALU_DEP_2)
	v_fmac_f16_e32 v8, v9, v4
	s_wait_loadcnt 0x3
	v_lshrrev_b32_e32 v7, 16, v10
	v_fmac_f16_e32 v11, v3, v9
	v_fmac_f16_e32 v5, v3, v9
	v_pack_b32_f16 v3, v6, v11
	s_delay_alu instid0(VALU_DEP_2)
	;; [unrolled: 28-line block ×3, first 2 shown]
	v_pack_b32_f16 v4, v8, v5
	ds_store_b32 v26, v3 offset:3840
	ds_store_b32 v0, v4 offset:8960
	ds_load_b32 v3, v26 offset:4480
	ds_load_b32 v4, v0 offset:8320
	s_wait_dscnt 0x1
	v_lshrrev_b32_e32 v5, 16, v3
	s_wait_dscnt 0x0
	v_lshrrev_b32_e32 v6, 16, v4
	v_add_f16_e32 v8, v3, v4
	v_sub_f16_e32 v3, v3, v4
	s_delay_alu instid0(VALU_DEP_3) | instskip(SKIP_1) | instid1(VALU_DEP_3)
	v_add_f16_e32 v4, v6, v5
	v_sub_f16_e32 v5, v5, v6
	v_fma_f16 v6, v3, v7, v8
	v_fma_f16 v8, -v3, v7, v8
	s_delay_alu instid0(VALU_DEP_3) | instskip(SKIP_1) | instid1(VALU_DEP_4)
	v_fma_f16 v9, v4, v7, v5
	v_fma_f16 v5, v4, v7, -v5
	v_fma_f16 v6, -v2, v4, v6
	s_delay_alu instid0(VALU_DEP_4) | instskip(NEXT) | instid1(VALU_DEP_4)
	v_fmac_f16_e32 v8, v2, v4
	v_fmac_f16_e32 v9, v3, v2
	s_delay_alu instid0(VALU_DEP_4) | instskip(NEXT) | instid1(VALU_DEP_2)
	v_fmac_f16_e32 v5, v3, v2
	v_pack_b32_f16 v2, v6, v9
	s_delay_alu instid0(VALU_DEP_2)
	v_pack_b32_f16 v3, v8, v5
	ds_store_b32 v26, v2 offset:4480
	ds_store_b32 v0, v3 offset:8320
	ds_load_b32 v2, v26 offset:5120
	ds_load_b32 v3, v0 offset:7680
	s_wait_loadcnt 0x1
	v_lshrrev_b32_e32 v6, 16, v14
	s_wait_dscnt 0x1
	v_lshrrev_b32_e32 v4, 16, v2
	s_wait_dscnt 0x0
	v_lshrrev_b32_e32 v5, 16, v3
	v_add_f16_e32 v7, v2, v3
	v_sub_f16_e32 v2, v2, v3
	s_delay_alu instid0(VALU_DEP_3) | instskip(SKIP_1) | instid1(VALU_DEP_3)
	v_add_f16_e32 v3, v5, v4
	v_sub_f16_e32 v4, v4, v5
	v_fma_f16 v5, v2, v6, v7
	v_fma_f16 v7, -v2, v6, v7
	s_delay_alu instid0(VALU_DEP_3) | instskip(SKIP_1) | instid1(VALU_DEP_4)
	v_fma_f16 v8, v3, v6, v4
	v_fma_f16 v4, v3, v6, -v4
	v_fma_f16 v5, -v14, v3, v5
	s_delay_alu instid0(VALU_DEP_4) | instskip(SKIP_3) | instid1(VALU_DEP_3)
	v_fmac_f16_e32 v7, v14, v3
	v_and_b32_e32 v6, 0xffff, v36
	v_fmac_f16_e32 v8, v2, v14
	v_fmac_f16_e32 v4, v2, v14
	v_mul_u32_u24_e32 v6, 0xcccd, v6
	s_delay_alu instid0(VALU_DEP_3) | instskip(NEXT) | instid1(VALU_DEP_3)
	v_pack_b32_f16 v2, v5, v8
	v_pack_b32_f16 v3, v7, v4
	ds_store_b32 v26, v2 offset:5120
	ds_store_b32 v0, v3 offset:7680
	ds_load_b32 v3, v26 offset:5760
	ds_load_b32 v4, v0 offset:7040
	v_and_b32_e32 v5, 0xff, v18
	v_lshrrev_b32_e32 v38, 19, v6
	v_mad_u32_u24 v2, v18, 36, v26
	s_delay_alu instid0(VALU_DEP_3) | instskip(NEXT) | instid1(VALU_DEP_2)
	v_mul_lo_u16 v5, 0xcd, v5
	v_add_nc_u32_e32 v49, 0x1910, v2
	v_add_nc_u32_e32 v50, 0x1918, v2
	v_add_nc_u32_e32 v51, 0x1920, v2
	s_delay_alu instid0(VALU_DEP_4)
	v_lshrrev_b16 v37, 11, v5
	s_wait_dscnt 0x1
	v_lshrrev_b32_e32 v5, 16, v3
	s_wait_dscnt 0x0
	v_lshrrev_b32_e32 v7, 16, v4
	v_add_f16_e32 v9, v3, v4
	v_sub_f16_e32 v3, v3, v4
	s_delay_alu instid0(VALU_DEP_3)
	v_add_f16_e32 v4, v7, v5
	v_sub_f16_e32 v5, v5, v7
	v_mul_lo_u16 v7, v37, 10
	v_and_b32_e32 v37, 0xffff, v37
	s_wait_loadcnt 0x0
	v_lshrrev_b32_e32 v8, 16, v1
	s_delay_alu instid0(VALU_DEP_1)
	v_fma_f16 v6, v3, v8, v9
	v_fma_f16 v9, -v3, v8, v9
	v_fma_f16 v10, v4, v8, v5
	v_fma_f16 v5, v4, v8, -v5
	v_mul_lo_u16 v8, v38, 10
	v_fma_f16 v6, -v1, v4, v6
	v_fmac_f16_e32 v9, v1, v4
	v_sub_nc_u16 v4, v18, v7
	v_fmac_f16_e32 v10, v3, v1
	v_sub_nc_u16 v7, v36, v8
	v_fmac_f16_e32 v5, v3, v1
	v_add_nc_u32_e32 v1, 0x1900, v2
	v_and_b32_e32 v39, 0xff, v4
	v_pack_b32_f16 v6, v6, v10
	v_and_b32_e32 v40, 0xffff, v7
	v_pack_b32_f16 v5, v9, v5
	ds_store_b32 v26, v6 offset:5760
	ds_store_b32 v0, v5 offset:7040
	v_mul_u32_u24_e32 v12, 9, v40
	global_wb scope:SCOPE_SE
	s_wait_dscnt 0x0
	s_barrier_signal -1
	s_barrier_wait -1
	global_inv scope:SCOPE_SE
	global_wb scope:SCOPE_SE
	s_barrier_signal -1
	s_barrier_wait -1
	global_inv scope:SCOPE_SE
	ds_load_2addr_b32 v[4:5], v28 offset1:160
	ds_load_2addr_b32 v[6:7], v30 offset1:160
	;; [unrolled: 1-line block ×4, first 2 shown]
	v_lshlrev_b32_e32 v53, 2, v12
	ds_load_2addr_b32 v[12:13], v26 offset1:160
	ds_load_2addr_b32 v[14:15], v35 offset0:64 offset1:224
	ds_load_2addr_b32 v[41:42], v34 offset0:64 offset1:224
	;; [unrolled: 1-line block ×5, first 2 shown]
	v_mul_u32_u24_e32 v0, 9, v39
	v_add_nc_u32_e32 v3, 0x1908, v2
	global_wb scope:SCOPE_SE
	s_wait_dscnt 0x0
	s_barrier_signal -1
	s_barrier_wait -1
	v_lshlrev_b32_e32 v52, 2, v0
	global_inv scope:SCOPE_SE
	v_lshlrev_b32_e32 v39, 2, v39
	v_lshrrev_b32_e32 v56, 16, v4
	v_add_f16_e32 v0, v4, v6
	v_lshrrev_b32_e32 v54, 16, v8
	v_lshrrev_b32_e32 v55, 16, v10
	;; [unrolled: 1-line block ×3, first 2 shown]
	v_sub_f16_e32 v58, v10, v6
	v_sub_f16_e32 v59, v8, v4
	v_add_f16_e32 v60, v8, v10
	v_sub_f16_e32 v61, v6, v10
	v_sub_f16_e32 v62, v4, v8
	v_pk_add_f16 v63, v12, v8
	v_add_f16_e32 v66, v14, v41
	v_lshrrev_b32_e32 v67, 16, v43
	v_lshrrev_b32_e32 v68, 16, v45
	;; [unrolled: 1-line block ×4, first 2 shown]
	v_sub_f16_e32 v71, v45, v41
	v_sub_f16_e32 v72, v43, v14
	v_add_f16_e32 v73, v43, v45
	v_sub_f16_e32 v74, v41, v45
	v_sub_f16_e32 v75, v14, v43
	v_pk_add_f16 v76, v47, v43
	v_add_f16_e32 v79, v5, v7
	v_add_f16_e32 v86, v9, v11
	v_pk_add_f16 v89, v13, v9
	v_pk_add_f16 v100, v48, v44
	v_lshrrev_b32_e32 v80, 16, v9
	v_lshrrev_b32_e32 v81, 16, v11
	;; [unrolled: 1-line block ×4, first 2 shown]
	v_sub_f16_e32 v84, v11, v7
	v_sub_f16_e32 v85, v9, v5
	;; [unrolled: 1-line block ×4, first 2 shown]
	v_add_f16_e32 v92, v15, v42
	v_lshrrev_b32_e32 v93, 16, v44
	v_lshrrev_b32_e32 v94, 16, v46
	;; [unrolled: 1-line block ×4, first 2 shown]
	v_sub_f16_e32 v97, v44, v15
	v_add_f16_e32 v98, v44, v46
	v_sub_f16_e32 v99, v15, v44
	v_sub_f16_e32 v101, v46, v42
	;; [unrolled: 1-line block ×3, first 2 shown]
	v_lshrrev_b32_e32 v64, 16, v12
	v_sub_f16_e32 v65, v4, v6
	v_lshrrev_b32_e32 v77, 16, v47
	v_sub_f16_e32 v78, v14, v41
	;; [unrolled: 2-line block ×3, first 2 shown]
	v_sub_f16_e32 v104, v15, v42
	v_fma_f16 v0, -0.5, v0, v12
	v_fma_f16 v12, -0.5, v60, v12
	;; [unrolled: 1-line block ×4, first 2 shown]
	v_pk_add_f16 v4, v63, v4
	v_pk_add_f16 v5, v89, v5
	v_fma_f16 v63, -0.5, v66, v47
	v_fma_f16 v47, -0.5, v73, v47
	v_pk_add_f16 v14, v76, v14
	v_pk_add_f16 v15, v100, v15
	v_sub_f16_e32 v73, v54, v55
	v_add_f16_e32 v58, v59, v58
	v_sub_f16_e32 v59, v56, v57
	v_add_f16_e32 v61, v62, v61
	v_add_f16_e32 v62, v56, v57
	v_sub_f16_e32 v76, v54, v56
	v_sub_f16_e32 v79, v55, v57
	;; [unrolled: 1-line block ×3, first 2 shown]
	v_add_f16_e32 v54, v54, v55
	v_sub_f16_e32 v55, v57, v55
	v_sub_f16_e32 v57, v67, v68
	v_add_f16_e32 v71, v72, v71
	v_sub_f16_e32 v72, v69, v70
	v_add_f16_e32 v74, v75, v74
	v_add_f16_e32 v75, v69, v70
	v_sub_f16_e32 v86, v67, v69
	v_sub_f16_e32 v69, v69, v67
	v_add_f16_e32 v67, v67, v68
	v_fma_f16 v66, -0.5, v92, v48
	v_sub_f16_e32 v89, v68, v70
	v_sub_f16_e32 v68, v70, v68
	;; [unrolled: 1-line block ×3, first 2 shown]
	v_add_f16_e32 v84, v85, v84
	v_sub_f16_e32 v85, v82, v83
	v_add_f16_e32 v87, v88, v87
	v_add_f16_e32 v88, v82, v83
	v_sub_f16_e32 v92, v80, v82
	v_sub_f16_e32 v82, v82, v80
	v_add_f16_e32 v80, v80, v81
	v_lshrrev_b32_e32 v102, 16, v48
	v_fma_f16 v48, -0.5, v98, v48
	v_sub_f16_e32 v98, v81, v83
	v_sub_f16_e32 v81, v83, v81
	;; [unrolled: 1-line block ×3, first 2 shown]
	v_add_f16_e32 v97, v97, v101
	v_sub_f16_e32 v100, v95, v96
	v_add_f16_e32 v99, v99, v103
	v_add_f16_e32 v101, v95, v96
	v_sub_f16_e32 v103, v93, v95
	v_sub_f16_e32 v95, v95, v93
	v_add_f16_e32 v93, v93, v94
	v_sub_f16_e32 v43, v43, v45
	v_pk_add_f16 v4, v4, v6
	v_pk_add_f16 v5, v5, v7
	;; [unrolled: 1-line block ×4, first 2 shown]
	v_add_f16_e32 v14, v76, v79
	v_fma_f16 v15, -0.5, v62, v64
	v_fmac_f16_e32 v64, -0.5, v54
	v_fma_f16 v54, -0.5, v75, v77
	v_fmac_f16_e32 v77, -0.5, v67
	v_fmamk_f16 v76, v57, 0x3b9c, v63
	v_fma_f16 v62, -0.5, v88, v90
	v_fmac_f16_e32 v90, -0.5, v80
	v_fmamk_f16 v80, v72, 0xbb9c, v47
	v_sub_f16_e32 v8, v8, v10
	v_sub_f16_e32 v44, v44, v46
	v_add_f16_e32 v42, v86, v89
	v_fmac_f16_e32 v63, 0xbb9c, v57
	v_fma_f16 v79, -0.5, v101, v102
	v_fmac_f16_e32 v102, -0.5, v93
	v_fmamk_f16 v86, v85, 0xbb9c, v13
	v_fmac_f16_e32 v13, 0x3b9c, v85
	v_sub_f16_e32 v9, v9, v11
	v_fmac_f16_e32 v47, 0x3b9c, v72
	v_fmamk_f16 v88, v83, 0x3b9c, v66
	v_fmac_f16_e32 v66, 0xbb9c, v83
	v_fmamk_f16 v89, v100, 0xbb9c, v48
	v_fmac_f16_e32 v48, 0x3b9c, v100
	v_pk_add_f16 v5, v5, v11
	v_pk_add_f16 v6, v6, v45
	;; [unrolled: 1-line block ×3, first 2 shown]
	v_fmac_f16_e32 v76, 0x38b4, v72
	v_fmamk_f16 v11, v65, 0x3b9c, v64
	v_fmac_f16_e32 v64, 0xbb9c, v65
	v_fmamk_f16 v45, v43, 0xbb9c, v54
	v_fmamk_f16 v46, v78, 0x3b9c, v77
	v_fmac_f16_e32 v77, 0xbb9c, v78
	v_fmac_f16_e32 v80, 0x38b4, v57
	;; [unrolled: 1-line block ×3, first 2 shown]
	v_sub_f16_e32 v105, v94, v96
	v_sub_f16_e32 v94, v96, v94
	v_add_f16_e32 v41, v56, v55
	v_add_f16_e32 v55, v69, v68
	v_fmamk_f16 v67, v73, 0x3b9c, v0
	v_fmac_f16_e32 v0, 0xbb9c, v73
	v_add_f16_e32 v68, v82, v81
	v_fmamk_f16 v82, v70, 0x3b9c, v60
	v_fmac_f16_e32 v60, 0xbb9c, v70
	v_pk_add_f16 v4, v4, v10
	v_fmac_f16_e32 v63, 0xb8b4, v72
	v_fmamk_f16 v10, v8, 0xbb9c, v15
	v_fmac_f16_e32 v15, 0x3b9c, v8
	v_fmac_f16_e32 v86, 0x38b4, v70
	;; [unrolled: 1-line block ×3, first 2 shown]
	v_fmamk_f16 v70, v44, 0xbb9c, v79
	v_fmac_f16_e32 v79, 0x3b9c, v44
	v_fmamk_f16 v72, v104, 0x3b9c, v102
	v_fmac_f16_e32 v102, 0xbb9c, v104
	;; [unrolled: 2-line block ×3, first 2 shown]
	v_fmac_f16_e32 v47, 0xb8b4, v57
	v_fmac_f16_e32 v88, 0x38b4, v100
	;; [unrolled: 1-line block ×5, first 2 shown]
	v_fmamk_f16 v57, v9, 0xbb9c, v62
	v_fmac_f16_e32 v62, 0x3b9c, v9
	v_fmac_f16_e32 v11, 0xb8b4, v8
	;; [unrolled: 1-line block ×9, first 2 shown]
	v_add_f16_e32 v75, v103, v105
	v_add_f16_e32 v81, v95, v94
	v_fmac_f16_e32 v67, 0x38b4, v59
	v_fmac_f16_e32 v0, 0xb8b4, v59
	v_fmamk_f16 v59, v91, 0x3b9c, v90
	v_fmac_f16_e32 v90, 0xbb9c, v91
	v_fmac_f16_e32 v10, 0xb8b4, v65
	v_fmac_f16_e32 v15, 0x38b4, v65
	v_fmac_f16_e32 v63, 0x34f2, v71
	v_fmac_f16_e32 v79, 0x38b4, v104
	v_fmac_f16_e32 v72, 0xb8b4, v44
	v_fmac_f16_e32 v102, 0x38b4, v44
	v_add_f16_e32 v56, v92, v98
	v_fmac_f16_e32 v69, 0x38b4, v73
	v_fmac_f16_e32 v12, 0xb8b4, v73
	;; [unrolled: 1-line block ×3, first 2 shown]
	v_pk_add_f16 v8, v4, v6
	v_pk_add_f16 v4, v4, v6 neg_lo:[0,1] neg_hi:[0,1]
	v_fmac_f16_e32 v57, 0xb8b4, v91
	v_fmac_f16_e32 v62, 0x38b4, v91
	;; [unrolled: 1-line block ×7, first 2 shown]
	v_pk_add_f16 v6, v5, v7
	v_pk_add_f16 v5, v5, v7 neg_lo:[0,1] neg_hi:[0,1]
	v_fmac_f16_e32 v11, 0x34f2, v41
	v_fmac_f16_e32 v64, 0x34f2, v41
	;; [unrolled: 1-line block ×5, first 2 shown]
	v_mul_f16_e32 v7, 0x3a79, v76
	v_mul_f16_e32 v41, 0xb8b4, v76
	v_fmac_f16_e32 v54, 0x34f2, v42
	v_mul_f16_e32 v42, 0xbb9c, v80
	v_fmac_f16_e32 v59, 0xb8b4, v9
	v_fmac_f16_e32 v90, 0x38b4, v9
	;; [unrolled: 1-line block ×4, first 2 shown]
	v_mul_f16_e32 v14, 0x3a79, v63
	v_fmac_f16_e32 v79, 0x34f2, v75
	v_fmac_f16_e32 v72, 0x34f2, v81
	;; [unrolled: 1-line block ×9, first 2 shown]
	v_mul_f16_e32 v9, 0x34f2, v47
	v_fmac_f16_e32 v57, 0x34f2, v56
	v_fmac_f16_e32 v62, 0x34f2, v56
	;; [unrolled: 1-line block ×3, first 2 shown]
	v_mul_f16_e32 v43, 0x3a79, v88
	v_mul_f16_e32 v44, 0x34f2, v48
	;; [unrolled: 1-line block ×5, first 2 shown]
	v_fmac_f16_e32 v7, 0x38b4, v45
	v_mul_f16_e32 v61, 0x3b9c, v46
	v_fmac_f16_e32 v41, 0x3a79, v45
	v_mul_f16_e32 v45, 0x34f2, v77
	;; [unrolled: 2-line block ×3, first 2 shown]
	v_fmac_f16_e32 v59, 0x34f2, v68
	v_fmac_f16_e32 v90, 0x34f2, v68
	v_fma_f16 v14, v54, 0x38b4, -v14
	v_mul_f16_e32 v54, 0x3b9c, v72
	v_mul_f16_e32 v65, 0x34f2, v102
	;; [unrolled: 1-line block ×3, first 2 shown]
	v_fmac_f16_e32 v82, 0x34f2, v84
	v_fmac_f16_e32 v60, 0x34f2, v84
	;; [unrolled: 1-line block ×3, first 2 shown]
	v_fma_f16 v9, v77, 0x3b9c, -v9
	v_fmac_f16_e32 v43, 0x38b4, v70
	v_fma_f16 v44, v102, 0x3b9c, -v44
	v_fma_f16 v55, v79, 0x38b4, -v55
	v_fmac_f16_e32 v56, 0x3a79, v70
	v_fmac_f16_e32 v58, 0x34f2, v72
	v_fmac_f16_e32 v61, 0x34f2, v80
	v_fma_f16 v45, v47, 0xbb9c, -v45
	v_fma_f16 v46, v63, 0xb8b4, -v46
	v_fmac_f16_e32 v86, 0x34f2, v87
	v_fmac_f16_e32 v54, 0x34f2, v89
	v_fma_f16 v48, v48, 0xbb9c, -v65
	v_fma_f16 v63, v66, 0xb8b4, -v68
	v_add_f16_e32 v70, v67, v7
	v_add_f16_e32 v73, v10, v41
	;; [unrolled: 1-line block ×5, first 2 shown]
	v_sub_f16_e32 v7, v67, v7
	v_sub_f16_e32 v9, v12, v9
	;; [unrolled: 1-line block ×5, first 2 shown]
	v_add_f16_e32 v12, v82, v43
	v_add_f16_e32 v14, v13, v44
	;; [unrolled: 1-line block ×5, first 2 shown]
	v_sub_f16_e32 v43, v82, v43
	v_sub_f16_e32 v13, v13, v44
	v_sub_f16_e32 v44, v60, v55
	v_sub_f16_e32 v55, v57, v56
	v_sub_f16_e32 v56, v59, v58
	v_add_f16_e32 v57, v69, v61
	v_add_f16_e32 v58, v64, v45
	;; [unrolled: 1-line block ×3, first 2 shown]
	v_sub_f16_e32 v60, v69, v61
	v_sub_f16_e32 v45, v64, v45
	;; [unrolled: 1-line block ×3, first 2 shown]
	v_add_f16_e32 v46, v86, v54
	v_add_f16_e32 v61, v90, v48
	;; [unrolled: 1-line block ×3, first 2 shown]
	v_sub_f16_e32 v48, v90, v48
	v_sub_f16_e32 v54, v86, v54
	;; [unrolled: 1-line block ×3, first 2 shown]
	v_pack_b32_f16 v63, v70, v73
	v_pack_b32_f16 v7, v7, v10
	;; [unrolled: 1-line block ×16, first 2 shown]
	ds_store_2addr_b32 v2, v8, v63 offset1:1
	ds_store_2addr_b32 v2, v43, v42 offset0:2 offset1:3
	ds_store_2addr_b32 v2, v55, v4 offset0:4 offset1:5
	;; [unrolled: 1-line block ×4, first 2 shown]
	ds_store_2addr_b32 v1, v6, v10 offset1:1
	ds_store_2addr_b32 v3, v15, v14 offset1:1
	;; [unrolled: 1-line block ×5, first 2 shown]
	v_mov_b32_e32 v44, v19
	global_wb scope:SCOPE_SE
	s_wait_dscnt 0x0
	s_barrier_signal -1
	s_barrier_wait -1
	global_inv scope:SCOPE_SE
	s_clause 0x5
	global_load_b128 v[12:15], v52, s[8:9]
	global_load_b128 v[4:7], v53, s[8:9]
	global_load_b128 v[0:3], v52, s[8:9] offset:16
	global_load_b32 v41, v52, s[8:9] offset:32
	global_load_b128 v[8:11], v53, s[8:9] offset:16
	global_load_b32 v42, v53, s[8:9] offset:32
	v_add_nc_u32_e32 v43, 0xffffff9c, v18
	v_add_nc_u32_e32 v46, 0x140, v18
	v_add_nc_u16 v45, v18, 0x1e0
	v_add_nc_u16 v50, v18, 0x280
	v_lshrrev_b16 v48, 2, v36
	s_wait_alu 0xf1ff
	v_cndmask_b32_e64 v47, v43, v18, s0
	v_lshrrev_b16 v49, 2, v46
	v_lshrrev_b16 v51, 2, v45
	;; [unrolled: 1-line block ×3, first 2 shown]
	v_and_b32_e32 v48, 0xffff, v48
	v_mul_i32_i24_e32 v43, 3, v47
	v_and_b32_e32 v53, 0xffff, v49
	v_and_b32_e32 v51, 0xffff, v51
	;; [unrolled: 1-line block ×3, first 2 shown]
	v_mul_u32_u24_e32 v54, 0x147b, v48
	v_lshlrev_b64_e32 v[48:49], 2, v[43:44]
	v_mul_u32_u24_e32 v43, 0x147b, v53
	v_mul_u32_u24_e32 v44, 0x147b, v51
	;; [unrolled: 1-line block ×5, first 2 shown]
	v_lshrrev_b32_e32 v37, 17, v54
	v_lshrrev_b32_e32 v38, 17, v43
	;; [unrolled: 1-line block ×4, first 2 shown]
	v_lshlrev_b32_e32 v72, 2, v40
	v_mul_lo_u16 v51, 0x64, v37
	v_mul_lo_u16 v53, 0x64, v38
	;; [unrolled: 1-line block ×4, first 2 shown]
	v_add3_u32 v73, 0, v52, v39
	v_sub_nc_u16 v36, v36, v51
	v_sub_nc_u16 v51, v46, v53
	;; [unrolled: 1-line block ×4, first 2 shown]
	v_add_co_u32 v48, s0, s8, v48
	s_delay_alu instid0(VALU_DEP_4)
	v_and_b32_e32 v40, 0xffff, v51
	ds_load_2addr_b32 v[50:51], v26 offset1:160
	ds_load_2addr_b32 v[52:53], v28 offset1:160
	ds_load_2addr_b32 v[54:55], v35 offset0:64 offset1:224
	ds_load_2addr_b32 v[56:57], v30 offset1:160
	ds_load_2addr_b32 v[58:59], v34 offset0:64 offset1:224
	;; [unrolled: 2-line block ×3, first 2 shown]
	ds_load_2addr_b32 v[64:65], v32 offset0:64 offset1:224
	ds_load_2addr_b32 v[66:67], v27 offset1:160
	ds_load_2addr_b32 v[68:69], v31 offset0:64 offset1:224
	v_and_b32_e32 v39, 0xffff, v36
	v_and_b32_e32 v36, 0xffff, v45
	;; [unrolled: 1-line block ×3, first 2 shown]
	v_mul_u32_u24_e32 v71, 3, v40
	s_wait_alu 0xf1ff
	v_add_co_ci_u32_e64 v49, s0, s9, v49, s0
	v_mul_u32_u24_e32 v74, 3, v39
	v_add3_u32 v70, 0, v70, v72
	v_mul_u32_u24_e32 v72, 3, v36
	global_wb scope:SCOPE_SE
	s_wait_loadcnt_dscnt 0x0
	s_barrier_signal -1
	v_lshlrev_b32_e32 v74, 2, v74
	v_lshrrev_b32_e32 v75, 16, v50
	v_lshrrev_b32_e32 v76, 16, v52
	;; [unrolled: 1-line block ×20, first 2 shown]
	s_barrier_wait -1
	global_inv scope:SCOPE_SE
	v_cmp_lt_u32_e64 s0, 0x63, v18
	v_mul_u32_u24_e32 v37, 0x640, v37
	v_mul_u32_u24_e32 v38, 0x640, v38
	v_lshlrev_b32_e32 v39, 2, v39
	v_lshlrev_b32_e32 v40, 2, v40
	s_delay_alu instid0(VALU_DEP_1)
	v_add3_u32 v40, 0, v38, v40
	v_lshrrev_b32_e32 v97, 16, v14
	v_lshrrev_b32_e32 v98, 16, v15
	;; [unrolled: 1-line block ×6, first 2 shown]
	v_mul_f16_e32 v115, v97, v68
	v_mul_f16_e32 v116, v52, v98
	;; [unrolled: 1-line block ×3, first 2 shown]
	v_lshrrev_b32_e32 v99, 16, v4
	v_lshrrev_b32_e32 v100, 16, v5
	;; [unrolled: 1-line block ×8, first 2 shown]
	v_mul_f16_e32 v113, v95, v64
	v_mul_f16_e32 v114, v96, v66
	;; [unrolled: 1-line block ×5, first 2 shown]
	v_lshrrev_b32_e32 v101, 16, v6
	v_lshrrev_b32_e32 v108, 16, v8
	;; [unrolled: 1-line block ×4, first 2 shown]
	v_fmac_f16_e32 v115, v14, v92
	v_mul_f16_e32 v92, v56, v104
	v_fmac_f16_e32 v116, v76, v15
	v_fma_f16 v15, v52, v15, -v98
	v_mul_f16_e32 v52, v60, v106
	v_mul_f16_e32 v117, v83, v99
	v_mul_f16_e32 v99, v65, v99
	v_mul_f16_e32 v118, v84, v100
	v_mul_f16_e32 v100, v67, v100
	v_fmac_f16_e32 v113, v12, v90
	v_mul_f16_e32 v90, v86, v102
	v_mul_f16_e32 v102, v53, v102
	v_fmac_f16_e32 v114, v13, v91
	v_mul_f16_e32 v91, v54, v103
	v_mul_f16_e32 v103, v77, v103
	;; [unrolled: 1-line block ×4, first 2 shown]
	v_fma_f16 v12, v12, v64, -v95
	v_fma_f16 v13, v13, v66, -v96
	;; [unrolled: 1-line block ×3, first 2 shown]
	v_mul_f16_e32 v64, v79, v105
	v_mul_f16_e32 v66, v80, v106
	;; [unrolled: 1-line block ×15, first 2 shown]
	v_fmac_f16_e32 v92, v78, v1
	v_fmac_f16_e32 v52, v80, v3
	v_fma_f16 v65, v65, v4, -v117
	v_mul_f16_e32 v110, v94, v112
	v_fmac_f16_e32 v99, v83, v4
	v_fmac_f16_e32 v100, v84, v5
	;; [unrolled: 1-line block ×5, first 2 shown]
	v_fma_f16 v0, v54, v0, -v103
	v_fma_f16 v1, v56, v1, -v104
	;; [unrolled: 1-line block ×4, first 2 shown]
	v_fmac_f16_e32 v95, v81, v41
	v_fma_f16 v4, v62, v41, -v68
	v_fmac_f16_e32 v105, v88, v9
	v_fmac_f16_e32 v109, v93, v11
	v_fma_f16 v67, v67, v5, -v118
	v_fma_f16 v69, v69, v6, -v119
	;; [unrolled: 1-line block ×3, first 2 shown]
	v_fmac_f16_e32 v101, v85, v6
	v_fma_f16 v5, v55, v8, -v96
	v_fmac_f16_e32 v97, v87, v8
	v_fma_f16 v6, v57, v9, -v98
	v_fma_f16 v7, v59, v10, -v106
	v_fmac_f16_e32 v107, v89, v10
	v_fma_f16 v8, v61, v11, -v108
	v_fmac_f16_e32 v111, v94, v42
	v_add_f16_e32 v55, v116, v92
	v_add_f16_e32 v58, v114, v52
	v_sub_f16_e32 v59, v116, v114
	v_sub_f16_e32 v60, v92, v52
	v_fma_f16 v9, v63, v42, -v110
	v_sub_f16_e32 v10, v13, v15
	v_sub_f16_e32 v11, v3, v1
	;; [unrolled: 1-line block ×6, first 2 shown]
	v_add_f16_e32 v61, v12, v14
	v_add_f16_e32 v62, v0, v2
	v_sub_f16_e32 v63, v14, v0
	v_sub_f16_e32 v64, v4, v2
	v_add_f16_e32 v66, v14, v4
	v_sub_f16_e32 v68, v0, v14
	v_sub_f16_e32 v77, v2, v4
	v_add_f16_e32 v78, v113, v115
	v_add_f16_e32 v79, v91, v76
	v_sub_f16_e32 v80, v115, v91
	v_sub_f16_e32 v81, v95, v76
	v_add_f16_e32 v83, v115, v95
	v_sub_f16_e32 v84, v91, v115
	v_sub_f16_e32 v85, v76, v95
	;; [unrolled: 1-line block ×4, first 2 shown]
	v_add_f16_e32 v54, v75, v114
	v_add_f16_e32 v86, v51, v67
	v_sub_f16_e32 v88, v67, v53
	v_sub_f16_e32 v89, v8, v6
	v_add_f16_e32 v103, v102, v105
	v_add_f16_e32 v104, v100, v109
	;; [unrolled: 1-line block ×3, first 2 shown]
	v_sub_f16_e32 v108, v102, v100
	v_sub_f16_e32 v110, v105, v109
	v_fma_f16 v55, -0.5, v55, v75
	v_fmac_f16_e32 v75, -0.5, v58
	v_sub_f16_e32 v58, v101, v97
	v_add_f16_e32 v59, v59, v60
	v_sub_f16_e32 v60, v111, v107
	v_add_f16_e32 v87, v53, v6
	v_add_f16_e32 v90, v67, v8
	;; [unrolled: 1-line block ×7, first 2 shown]
	v_sub_f16_e32 v42, v5, v69
	v_add_f16_e32 v56, v56, v57
	v_sub_f16_e32 v57, v7, v9
	v_add_f16_e32 v63, v63, v64
	v_add_f16_e32 v64, v97, v107
	v_fma_f16 v62, -0.5, v62, v12
	v_fmac_f16_e32 v12, -0.5, v66
	v_add_f16_e32 v66, v101, v111
	v_add_f16_e32 v68, v68, v77
	v_add_f16_e32 v77, v99, v101
	v_add_f16_e32 v80, v80, v81
	v_sub_f16_e32 v81, v97, v101
	v_fma_f16 v79, -0.5, v79, v113
	v_fmac_f16_e32 v113, -0.5, v83
	v_sub_f16_e32 v83, v107, v111
	v_add_f16_e32 v84, v84, v85
	v_add_f16_e32 v85, v50, v13
	;; [unrolled: 1-line block ×3, first 2 shown]
	v_sub_f16_e32 v98, v0, v2
	v_sub_f16_e32 v14, v14, v4
	;; [unrolled: 1-line block ×3, first 2 shown]
	v_add_f16_e32 v0, v61, v0
	v_add_f16_e32 v61, v78, v91
	v_sub_f16_e32 v93, v53, v67
	v_sub_f16_e32 v94, v6, v8
	v_add_f16_e32 v88, v88, v89
	v_add_f16_e32 v89, v15, v1
	v_fma_f16 v103, -0.5, v103, v82
	v_fmac_f16_e32 v82, -0.5, v104
	v_sub_f16_e32 v104, v91, v76
	v_add_f16_e32 v108, v108, v110
	v_sub_f16_e32 v110, v53, v6
	v_add_f16_e32 v58, v58, v60
	v_add_f16_e32 v60, v13, v3
	;; [unrolled: 1-line block ×4, first 2 shown]
	v_sub_f16_e32 v112, v69, v5
	v_sub_f16_e32 v117, v9, v7
	v_fma_f16 v87, -0.5, v87, v51
	v_fmac_f16_e32 v51, -0.5, v90
	v_sub_f16_e32 v90, v15, v1
	v_fma_f16 v118, -0.5, v118, v65
	v_fmac_f16_e32 v65, -0.5, v119
	v_sub_f16_e32 v119, v5, v7
	v_add_f16_e32 v42, v42, v57
	v_sub_f16_e32 v57, v97, v107
	v_sub_f16_e32 v101, v101, v111
	;; [unrolled: 1-line block ×3, first 2 shown]
	v_fma_f16 v64, -0.5, v64, v99
	v_fmac_f16_e32 v99, -0.5, v66
	v_add_f16_e32 v66, v81, v83
	v_add_f16_e32 v15, v85, v15
	;; [unrolled: 1-line block ×7, first 2 shown]
	v_fmamk_f16 v76, v115, 0x3b9c, v62
	v_fmamk_f16 v81, v14, 0xbb9c, v79
	v_add_f16_e32 v93, v93, v94
	v_sub_f16_e32 v94, v116, v92
	v_sub_f16_e32 v114, v114, v52
	v_fma_f16 v77, -0.5, v89, v50
	v_fma_f16 v50, -0.5, v60, v50
	v_add_f16_e32 v6, v53, v6
	v_add_f16_e32 v53, v78, v105
	v_fmamk_f16 v78, v104, 0xbb9c, v12
	v_fmac_f16_e32 v12, 0x3b9c, v104
	v_fmamk_f16 v83, v98, 0x3b9c, v113
	v_fmac_f16_e32 v113, 0xbb9c, v98
	v_fmac_f16_e32 v62, 0xbb9c, v115
	v_fmac_f16_e32 v79, 0x3b9c, v14
	v_add_f16_e32 v112, v112, v117
	v_sub_f16_e32 v117, v102, v105
	v_sub_f16_e32 v13, v13, v3
	v_add_f16_e32 v1, v15, v1
	v_add_f16_e32 v15, v54, v92
	;; [unrolled: 1-line block ×4, first 2 shown]
	v_fmamk_f16 v92, v101, 0x3b9c, v118
	v_fmac_f16_e32 v118, 0xbb9c, v101
	v_fmamk_f16 v97, v57, 0xbb9c, v65
	v_fmac_f16_e32 v65, 0x3b9c, v57
	;; [unrolled: 2-line block ×4, first 2 shown]
	v_fmac_f16_e32 v76, 0x38b4, v104
	v_fmac_f16_e32 v81, 0xb8b4, v98
	v_fmamk_f16 v11, v114, 0x3b9c, v77
	v_fmac_f16_e32 v77, 0xbb9c, v114
	v_fmamk_f16 v54, v94, 0xbb9c, v50
	v_fmac_f16_e32 v50, 0x3b9c, v94
	v_fmac_f16_e32 v78, 0x38b4, v115
	;; [unrolled: 1-line block ×7, first 2 shown]
	v_sub_f16_e32 v100, v100, v109
	v_sub_f16_e32 v67, v67, v8
	v_fmamk_f16 v60, v13, 0xbb9c, v55
	v_fmac_f16_e32 v55, 0x3b9c, v13
	v_fmamk_f16 v61, v90, 0x3b9c, v75
	v_fmac_f16_e32 v75, 0xbb9c, v90
	v_add_f16_e32 v1, v1, v3
	v_add_f16_e32 v3, v15, v52
	;; [unrolled: 1-line block ×7, first 2 shown]
	v_fmac_f16_e32 v92, 0x38b4, v57
	v_fmac_f16_e32 v118, 0xb8b4, v57
	;; [unrolled: 1-line block ×4, first 2 shown]
	v_add_f16_e32 v7, v7, v111
	v_fmac_f16_e32 v102, 0xb8b4, v119
	v_fmac_f16_e32 v64, 0x38b4, v119
	;; [unrolled: 1-line block ×16, first 2 shown]
	v_fmamk_f16 v85, v100, 0x3b9c, v87
	v_fmac_f16_e32 v87, 0xbb9c, v100
	v_fmamk_f16 v86, v117, 0xbb9c, v51
	v_fmac_f16_e32 v51, 0x3b9c, v117
	;; [unrolled: 2-line block ×4, first 2 shown]
	v_fmac_f16_e32 v60, 0xb8b4, v90
	v_fmac_f16_e32 v55, 0x38b4, v90
	;; [unrolled: 1-line block ×4, first 2 shown]
	v_add_f16_e32 v8, v1, v0
	v_add_f16_e32 v9, v3, v2
	v_sub_f16_e32 v0, v1, v0
	v_sub_f16_e32 v1, v3, v2
	v_fmac_f16_e32 v92, 0x34f2, v112
	v_fmac_f16_e32 v118, 0x34f2, v112
	;; [unrolled: 1-line block ×8, first 2 shown]
	v_add_f16_e32 v2, v4, v5
	v_add_f16_e32 v3, v6, v7
	v_sub_f16_e32 v4, v4, v5
	v_sub_f16_e32 v5, v6, v7
	v_mul_f16_e32 v6, 0x38b4, v81
	v_mul_f16_e32 v14, 0xb8b4, v76
	v_fmac_f16_e32 v11, 0x34f2, v10
	v_fmac_f16_e32 v77, 0x34f2, v10
	;; [unrolled: 1-line block ×4, first 2 shown]
	v_mul_f16_e32 v7, 0x3b9c, v83
	v_mul_f16_e32 v10, 0x34f2, v12
	;; [unrolled: 1-line block ×6, first 2 shown]
	v_fmac_f16_e32 v85, 0x38b4, v117
	v_fmac_f16_e32 v87, 0xb8b4, v117
	;; [unrolled: 1-line block ×12, first 2 shown]
	v_mul_f16_e32 v52, 0x38b4, v102
	v_mul_f16_e32 v53, 0x3b9c, v105
	;; [unrolled: 1-line block ×8, first 2 shown]
	v_fmac_f16_e32 v6, 0x3a79, v76
	v_fmac_f16_e32 v14, 0x3a79, v81
	v_pack_b32_f16 v0, v0, v1
	v_pack_b32_f16 v1, v2, v3
	;; [unrolled: 1-line block ×3, first 2 shown]
	v_fmac_f16_e32 v7, 0x34f2, v78
	v_fma_f16 v3, v113, 0x3b9c, -v10
	v_fmac_f16_e32 v15, 0x34f2, v83
	v_fma_f16 v5, v12, 0xbb9c, -v41
	v_pack_b32_f16 v8, v8, v9
	v_fma_f16 v4, v79, 0x38b4, -v13
	v_fma_f16 v9, v62, 0xb8b4, -v42
	v_fmac_f16_e32 v85, 0x34f2, v88
	v_fmac_f16_e32 v87, 0x34f2, v88
	;; [unrolled: 1-line block ×10, first 2 shown]
	v_fma_f16 v10, v99, 0x3b9c, -v56
	v_fma_f16 v12, v64, 0x38b4, -v57
	v_fmac_f16_e32 v58, 0x3a79, v102
	v_fmac_f16_e32 v59, 0x34f2, v105
	v_fma_f16 v13, v65, 0xbb9c, -v63
	v_fma_f16 v41, v118, 0xb8b4, -v66
	v_add_f16_e32 v42, v11, v6
	v_add_f16_e32 v63, v60, v14
	;; [unrolled: 1-line block ×8, first 2 shown]
	v_sub_f16_e32 v6, v11, v6
	v_sub_f16_e32 v7, v54, v7
	;; [unrolled: 1-line block ×8, first 2 shown]
	v_add_f16_e32 v15, v85, v52
	v_add_f16_e32 v50, v86, v53
	;; [unrolled: 1-line block ×8, first 2 shown]
	v_sub_f16_e32 v52, v85, v52
	v_sub_f16_e32 v53, v86, v53
	;; [unrolled: 1-line block ×8, first 2 shown]
	v_pack_b32_f16 v42, v42, v63
	v_pack_b32_f16 v56, v56, v64
	;; [unrolled: 1-line block ×16, first 2 shown]
	ds_store_2addr_b32 v73, v8, v42 offset1:10
	ds_store_2addr_b32 v73, v56, v57 offset0:20 offset1:30
	ds_store_2addr_b32 v73, v59, v0 offset0:40 offset1:50
	;; [unrolled: 1-line block ×4, first 2 shown]
	ds_store_2addr_b32 v70, v1, v5 offset1:10
	ds_store_2addr_b32 v70, v9, v11 offset0:20 offset1:30
	ds_store_2addr_b32 v70, v14, v2 offset0:40 offset1:50
	;; [unrolled: 1-line block ×4, first 2 shown]
	v_lshlrev_b32_e32 v0, 2, v71
	v_mul_u32_u24_e32 v1, 3, v45
	global_wb scope:SCOPE_SE
	s_wait_dscnt 0x0
	s_barrier_signal -1
	s_barrier_wait -1
	global_inv scope:SCOPE_SE
	global_load_b96 v[12:14], v[48:49], off offset:360
	v_lshlrev_b32_e32 v2, 2, v72
	s_clause 0x1
	global_load_b96 v[9:11], v74, s[8:9] offset:360
	global_load_b96 v[6:8], v0, s[8:9] offset:360
	v_lshlrev_b32_e32 v0, 2, v1
	s_clause 0x1
	global_load_b96 v[3:5], v2, s[8:9] offset:360
	global_load_b96 v[0:2], v0, s[8:9] offset:360
	v_add_nc_u32_e32 v15, 0xffffffb0, v18
	s_wait_alu 0xf1ff
	v_cndmask_b32_e64 v48, 0, 0x640, s0
	v_cmp_gt_u32_e64 s0, 0x50, v18
	v_mov_b32_e32 v42, v19
	v_mul_u32_u24_e32 v49, 0x640, v44
	v_lshlrev_b32_e32 v50, 2, v45
	v_add3_u32 v62, 0, v37, v39
	s_wait_alu 0xf1ff
	v_cndmask_b32_e64 v15, v15, v46, s0
	v_lshlrev_b32_e32 v46, 2, v47
	v_mul_u32_u24_e32 v47, 3, v18
	v_add3_u32 v64, 0, v49, v50
	v_add_nc_u32_e32 v65, 0x200, v62
	v_mul_i32_i24_e32 v41, 3, v15
	v_add3_u32 v59, 0, v48, v46
	v_lshlrev_b32_e32 v60, 2, v47
	v_mul_u32_u24_e32 v47, 0x640, v43
	v_lshlrev_b32_e32 v48, 2, v36
	ds_load_2addr_b32 v[36:37], v35 offset0:64 offset1:224
	ds_load_2addr_b32 v[38:39], v29 offset1:160
	ds_load_2addr_b32 v[43:44], v31 offset0:64 offset1:224
	ds_load_2addr_b32 v[45:46], v30 offset1:160
	ds_load_2addr_b32 v[51:52], v34 offset0:64 offset1:224
	ds_load_2addr_b32 v[53:54], v27 offset1:160
	ds_load_2addr_b32 v[49:50], v33 offset0:64 offset1:224
	v_add3_u32 v63, 0, v47, v48
	ds_load_2addr_b32 v[47:48], v28 offset1:160
	ds_load_2addr_b32 v[55:56], v26 offset1:160
	ds_load_2addr_b32 v[57:58], v32 offset0:64 offset1:224
	v_add_nc_u32_e32 v61, 0x200, v59
	v_lshlrev_b64_e32 v[41:42], 2, v[41:42]
	global_wb scope:SCOPE_SE
	s_wait_loadcnt_dscnt 0x0
	s_barrier_signal -1
	s_barrier_wait -1
	global_inv scope:SCOPE_SE
	v_add_nc_u32_e32 v66, 0x200, v40
	v_add_nc_u32_e32 v67, 0x200, v63
	;; [unrolled: 1-line block ×3, first 2 shown]
	v_lshlrev_b32_e32 v15, 2, v15
	v_lshrrev_b32_e32 v81, 16, v36
	v_lshrrev_b32_e32 v69, 16, v37
	;; [unrolled: 1-line block ×35, first 2 shown]
	v_mul_f16_e32 v104, v89, v54
	v_mul_f16_e32 v105, v90, v36
	;; [unrolled: 1-line block ×30, first 2 shown]
	v_fmac_f16_e32 v104, v12, v80
	v_fmac_f16_e32 v105, v13, v81
	;; [unrolled: 1-line block ×3, first 2 shown]
	v_fma_f16 v12, v12, v54, -v89
	v_fma_f16 v13, v13, v36, -v90
	;; [unrolled: 1-line block ×4, first 2 shown]
	v_fmac_f16_e32 v108, v9, v83
	v_fmac_f16_e32 v92, v69, v10
	;; [unrolled: 1-line block ×3, first 2 shown]
	v_fma_f16 v9, v9, v43, -v93
	v_fma_f16 v10, v38, v11, -v94
	v_fma_f16 v11, v44, v6, -v110
	v_fma_f16 v37, v39, v8, -v111
	v_fmac_f16_e32 v95, v71, v6
	v_fmac_f16_e32 v112, v72, v7
	;; [unrolled: 1-line block ×3, first 2 shown]
	v_fma_f16 v6, v45, v7, -v97
	v_fma_f16 v7, v46, v4, -v113
	v_fmac_f16_e32 v98, v74, v3
	v_fmac_f16_e32 v99, v75, v4
	v_fma_f16 v3, v47, v3, -v114
	v_fma_f16 v4, v49, v5, -v115
	v_fmac_f16_e32 v100, v76, v5
	v_fma_f16 v5, v48, v0, -v116
	v_fmac_f16_e32 v101, v77, v0
	;; [unrolled: 2-line block ×4, first 2 shown]
	v_sub_f16_e32 v2, v55, v13
	v_sub_f16_e32 v8, v84, v105
	;; [unrolled: 1-line block ×20, first 2 shown]
	v_fma_f16 v49, v55, 2.0, -v2
	v_fma_f16 v50, v84, 2.0, -v8
	;; [unrolled: 1-line block ×4, first 2 shown]
	v_sub_f16_e32 v14, v2, v14
	v_add_f16_e32 v13, v8, v13
	v_fma_f16 v52, v56, 2.0, -v36
	v_fma_f16 v54, v85, 2.0, -v38
	;; [unrolled: 1-line block ×8, first 2 shown]
	v_sub_f16_e32 v39, v36, v39
	v_add_f16_e32 v10, v38, v10
	v_sub_f16_e32 v44, v6, v44
	v_add_f16_e32 v37, v43, v37
	v_fma_f16 v58, v58, 2.0, -v7
	v_fma_f16 v70, v87, 2.0, -v45
	;; [unrolled: 1-line block ×8, first 2 shown]
	v_sub_f16_e32 v12, v49, v12
	v_sub_f16_e32 v51, v50, v51
	;; [unrolled: 1-line block ×3, first 2 shown]
	v_add_f16_e32 v4, v45, v4
	v_fma_f16 v2, v2, 2.0, -v14
	v_fma_f16 v8, v8, 2.0, -v13
	v_sub_f16_e32 v9, v52, v9
	v_sub_f16_e32 v55, v54, v55
	;; [unrolled: 1-line block ×3, first 2 shown]
	v_add_f16_e32 v1, v47, v1
	v_sub_f16_e32 v11, v56, v11
	v_sub_f16_e32 v69, v57, v69
	v_fma_f16 v36, v36, 2.0, -v39
	v_fma_f16 v38, v38, 2.0, -v10
	;; [unrolled: 1-line block ×3, first 2 shown]
	v_sub_f16_e32 v3, v58, v3
	v_sub_f16_e32 v71, v70, v71
	;; [unrolled: 1-line block ×4, first 2 shown]
	v_pack_b32_f16 v13, v14, v13
	v_pack_b32_f16 v10, v39, v10
	;; [unrolled: 1-line block ×3, first 2 shown]
	v_fma_f16 v37, v49, 2.0, -v12
	v_fma_f16 v39, v50, 2.0, -v51
	;; [unrolled: 1-line block ×5, first 2 shown]
	v_pack_b32_f16 v4, v46, v4
	v_fma_f16 v44, v52, 2.0, -v9
	v_fma_f16 v46, v54, 2.0, -v55
	v_pack_b32_f16 v2, v2, v8
	v_pack_b32_f16 v8, v12, v51
	v_fma_f16 v0, v0, 2.0, -v48
	v_fma_f16 v47, v47, 2.0, -v1
	v_pack_b32_f16 v1, v48, v1
	v_fma_f16 v48, v56, 2.0, -v11
	v_fma_f16 v49, v57, 2.0, -v69
	;; [unrolled: 1-line block ×6, first 2 shown]
	v_pack_b32_f16 v12, v36, v38
	v_pack_b32_f16 v36, v37, v39
	ds_store_2addr_b32 v61, v8, v13 offset0:72 offset1:172
	v_pack_b32_f16 v8, v44, v46
	v_pack_b32_f16 v9, v9, v55
	;; [unrolled: 1-line block ×11, first 2 shown]
	ds_store_2addr_b32 v59, v36, v2 offset1:100
	ds_store_2addr_b32 v62, v8, v12 offset1:100
	ds_store_2addr_b32 v65, v9, v10 offset0:72 offset1:172
	ds_store_2addr_b32 v40, v13, v6 offset1:100
	ds_store_2addr_b32 v66, v11, v14 offset0:72 offset1:172
	;; [unrolled: 2-line block ×4, first 2 shown]
	v_add_co_u32 v6, s0, s8, v41
	s_wait_alu 0xf1ff
	v_add_co_ci_u32_e64 v7, s0, s9, v42, s0
	global_wb scope:SCOPE_SE
	s_wait_dscnt 0x0
	s_barrier_signal -1
	s_barrier_wait -1
	global_inv scope:SCOPE_SE
	s_clause 0x1
	global_load_b96 v[0:2], v60, s[8:9] offset:1560
	global_load_b96 v[3:5], v60, s[8:9] offset:3480
	v_add_nc_u32_e32 v9, 0x3c0, v60
	global_load_b96 v[6:8], v[6:7], off offset:1560
	v_add_nc_u32_e32 v12, 0xb40, v60
	s_clause 0x1
	global_load_b96 v[9:11], v9, s[8:9] offset:1560
	global_load_b96 v[12:14], v12, s[8:9] offset:1560
	v_add_co_u32 v22, s0, s8, v22
	s_wait_alu 0xf1ff
	v_add_co_ci_u32_e64 v23, s0, s9, v23, s0
	ds_load_2addr_b32 v[36:37], v35 offset0:64 offset1:224
	ds_load_2addr_b32 v[38:39], v29 offset1:160
	ds_load_2addr_b32 v[40:41], v31 offset0:64 offset1:224
	ds_load_2addr_b32 v[42:43], v30 offset1:160
	ds_load_2addr_b32 v[44:45], v28 offset1:160
	ds_load_2addr_b32 v[46:47], v33 offset0:64 offset1:224
	ds_load_2addr_b32 v[48:49], v34 offset0:64 offset1:224
	ds_load_2addr_b32 v[50:51], v27 offset1:160
	v_cmp_lt_u32_e64 s0, 0x4f, v18
	v_add_nc_u32_e32 v58, 0x1200, v26
	v_add_nc_u32_e32 v56, 0x600, v26
	;; [unrolled: 1-line block ×4, first 2 shown]
	s_wait_alu 0xf1ff
	v_cndmask_b32_e64 v52, 0, 0x1900, s0
	v_add_co_u32 v24, s0, s8, v24
	s_wait_alu 0xf1ff
	v_add_co_ci_u32_e64 v25, s0, s9, v25, s0
	s_delay_alu instid0(VALU_DEP_3)
	v_add3_u32 v15, 0, v52, v15
	ds_load_2addr_b32 v[52:53], v26 offset1:160
	ds_load_2addr_b32 v[54:55], v32 offset0:64 offset1:224
	global_wb scope:SCOPE_SE
	s_wait_loadcnt_dscnt 0x0
	s_barrier_signal -1
	s_barrier_wait -1
	v_lshrrev_b32_e32 v62, 16, v37
	v_lshrrev_b32_e32 v63, 16, v38
	;; [unrolled: 1-line block ×20, first 2 shown]
	global_inv scope:SCOPE_SE
	v_add_nc_u32_e32 v60, 0x2000, v26
	v_add_nc_u32_e32 v61, 0x2600, v26
	v_lshrrev_b32_e32 v82, 16, v0
	v_lshrrev_b32_e32 v83, 16, v1
	;; [unrolled: 1-line block ×15, first 2 shown]
	v_mul_f16_e32 v97, v82, v51
	v_mul_f16_e32 v98, v83, v36
	;; [unrolled: 1-line block ×30, first 2 shown]
	v_fmac_f16_e32 v97, v0, v73
	v_fmac_f16_e32 v98, v1, v74
	;; [unrolled: 1-line block ×3, first 2 shown]
	v_fma_f16 v0, v0, v51, -v82
	v_fma_f16 v1, v1, v36, -v83
	;; [unrolled: 1-line block ×4, first 2 shown]
	v_fmac_f16_e32 v101, v3, v76
	v_fmac_f16_e32 v86, v62, v4
	;; [unrolled: 1-line block ×3, first 2 shown]
	v_fma_f16 v3, v3, v40, -v85
	v_fma_f16 v4, v38, v5, -v87
	;; [unrolled: 1-line block ×4, first 2 shown]
	v_fmac_f16_e32 v88, v64, v6
	v_fmac_f16_e32 v89, v65, v7
	v_fmac_f16_e32 v90, v66, v8
	v_fma_f16 v6, v42, v7, -v105
	v_fma_f16 v7, v44, v9, -v106
	v_fmac_f16_e32 v91, v67, v9
	v_fma_f16 v8, v43, v10, -v107
	v_fmac_f16_e32 v92, v68, v10
	;; [unrolled: 2-line block ×6, first 2 shown]
	v_sub_f16_e32 v1, v52, v1
	v_sub_f16_e32 v13, v77, v98
	;; [unrolled: 1-line block ×20, first 2 shown]
	v_fma_f16 v46, v52, 2.0, -v1
	v_fma_f16 v47, v77, 2.0, -v13
	;; [unrolled: 1-line block ×8, first 2 shown]
	v_sub_f16_e32 v14, v1, v14
	v_add_f16_e32 v2, v13, v2
	v_sub_f16_e32 v39, v36, v39
	v_add_f16_e32 v4, v38, v4
	v_fma_f16 v53, v54, 2.0, -v6
	v_fma_f16 v54, v79, 2.0, -v40
	v_fma_f16 v5, v5, 2.0, -v37
	v_fma_f16 v62, v88, 2.0, -v41
	v_sub_f16_e32 v41, v6, v41
	v_add_f16_e32 v37, v40, v37
	v_fma_f16 v55, v55, 2.0, -v8
	v_fma_f16 v63, v80, 2.0, -v42
	v_fma_f16 v7, v7, 2.0, -v9
	v_fma_f16 v64, v91, 2.0, -v43
	;; [unrolled: 6-line block ×3, first 2 shown]
	v_sub_f16_e32 v45, v11, v45
	v_add_f16_e32 v12, v44, v12
	v_sub_f16_e32 v0, v46, v0
	v_sub_f16_e32 v48, v47, v48
	;; [unrolled: 1-line block ×4, first 2 shown]
	v_fma_f16 v1, v1, 2.0, -v14
	v_fma_f16 v13, v13, 2.0, -v2
	;; [unrolled: 1-line block ×4, first 2 shown]
	v_sub_f16_e32 v5, v53, v5
	v_sub_f16_e32 v62, v54, v62
	v_fma_f16 v6, v6, 2.0, -v41
	v_fma_f16 v40, v40, 2.0, -v37
	v_sub_f16_e32 v7, v55, v7
	v_sub_f16_e32 v64, v63, v64
	v_fma_f16 v8, v8, 2.0, -v43
	v_fma_f16 v42, v42, 2.0, -v9
	;; [unrolled: 4-line block ×3, first 2 shown]
	v_pack_b32_f16 v2, v14, v2
	v_pack_b32_f16 v4, v39, v4
	;; [unrolled: 1-line block ×4, first 2 shown]
	v_fma_f16 v37, v46, 2.0, -v0
	v_fma_f16 v39, v47, 2.0, -v48
	;; [unrolled: 1-line block ×4, first 2 shown]
	v_pack_b32_f16 v12, v45, v12
	v_fma_f16 v45, v53, 2.0, -v5
	v_fma_f16 v46, v54, 2.0, -v62
	v_pack_b32_f16 v1, v1, v13
	v_pack_b32_f16 v13, v36, v38
	v_fma_f16 v47, v55, 2.0, -v7
	v_fma_f16 v49, v63, 2.0, -v64
	;; [unrolled: 1-line block ×4, first 2 shown]
	v_pack_b32_f16 v0, v0, v48
	v_pack_b32_f16 v3, v3, v52
	ds_store_2addr_b32 v58, v2, v4 offset0:48 offset1:208
	v_pack_b32_f16 v2, v6, v40
	v_pack_b32_f16 v4, v5, v62
	;; [unrolled: 1-line block ×8, first 2 shown]
	ds_store_2addr_b32 v56, v1, v13 offset0:16 offset1:176
	v_pack_b32_f16 v1, v45, v46
	ds_store_2addr_b32 v57, v0, v3 offset0:32 offset1:192
	v_pack_b32_f16 v0, v47, v49
	v_pack_b32_f16 v3, v50, v51
	ds_store_2addr_b32 v26, v10, v11 offset1:160
	ds_store_b32 v15, v1
	ds_store_b32 v15, v2 offset:1600
	ds_store_b32 v15, v4 offset:3200
	;; [unrolled: 1-line block ×3, first 2 shown]
	ds_store_2addr_b32 v59, v0, v3 offset0:16 offset1:176
	ds_store_2addr_b32 v60, v5, v7 offset0:32 offset1:192
	;; [unrolled: 1-line block ×4, first 2 shown]
	global_wb scope:SCOPE_SE
	s_wait_dscnt 0x0
	s_barrier_signal -1
	s_barrier_wait -1
	global_inv scope:SCOPE_SE
	s_clause 0x9
	global_load_b32 v36, v[24:25], off offset:11480
	global_load_b32 v37, v[24:25], off offset:12120
	global_load_b32 v38, v[22:23], off offset:6360
	global_load_b32 v39, v[24:25], off offset:7000
	global_load_b32 v40, v[24:25], off offset:7640
	global_load_b32 v41, v[24:25], off offset:8280
	global_load_b32 v42, v[24:25], off offset:8920
	global_load_b32 v43, v[24:25], off offset:9560
	global_load_b32 v44, v[24:25], off offset:10200
	global_load_b32 v45, v[24:25], off offset:10840
	ds_load_2addr_b32 v[0:1], v28 offset1:160
	ds_load_2addr_b32 v[2:3], v33 offset0:64 offset1:224
	ds_load_2addr_b32 v[4:5], v35 offset0:64 offset1:224
	ds_load_2addr_b32 v[6:7], v30 offset1:160
	ds_load_2addr_b32 v[8:9], v34 offset0:64 offset1:224
	ds_load_2addr_b32 v[10:11], v26 offset1:160
	ds_load_2addr_b32 v[12:13], v29 offset1:160
	ds_load_2addr_b32 v[14:15], v32 offset0:64 offset1:224
	ds_load_2addr_b32 v[22:23], v27 offset1:160
	ds_load_2addr_b32 v[24:25], v31 offset0:64 offset1:224
	global_wb scope:SCOPE_SE
	s_wait_loadcnt_dscnt 0x0
	s_barrier_signal -1
	s_barrier_wait -1
	global_inv scope:SCOPE_SE
	v_lshrrev_b32_e32 v46, 16, v0
	v_lshrrev_b32_e32 v47, 16, v2
	;; [unrolled: 1-line block ×6, first 2 shown]
	v_pk_mul_f16 v52, v38, v4 op_sel:[0,1]
	v_pk_mul_f16 v53, v39, v5 op_sel:[0,1]
	;; [unrolled: 1-line block ×8, first 2 shown]
	v_mul_f16_e32 v60, v47, v50
	v_mul_f16_e32 v50, v2, v50
	;; [unrolled: 1-line block ×4, first 2 shown]
	v_pk_fma_f16 v62, v38, v4, v52 op_sel:[0,0,1] op_sel_hi:[1,1,0] neg_lo:[0,0,1] neg_hi:[0,0,1]
	v_pk_fma_f16 v4, v38, v4, v52 op_sel:[0,0,1] op_sel_hi:[1,0,0]
	v_pk_fma_f16 v38, v39, v5, v53 op_sel:[0,0,1] op_sel_hi:[1,1,0] neg_lo:[0,0,1] neg_hi:[0,0,1]
	v_pk_fma_f16 v5, v39, v5, v53 op_sel:[0,0,1] op_sel_hi:[1,0,0]
	v_pk_fma_f16 v39, v40, v6, v54 op_sel:[0,0,1] op_sel_hi:[1,1,0] neg_lo:[0,0,1] neg_hi:[0,0,1]
	v_pk_fma_f16 v6, v40, v6, v54 op_sel:[0,0,1] op_sel_hi:[1,0,0]
	v_pk_fma_f16 v40, v41, v7, v55 op_sel:[0,0,1] op_sel_hi:[1,1,0] neg_lo:[0,0,1] neg_hi:[0,0,1]
	v_pk_fma_f16 v7, v41, v7, v55 op_sel:[0,0,1] op_sel_hi:[1,0,0]
	v_pk_fma_f16 v41, v8, v42, v56 op_sel:[0,0,1] op_sel_hi:[1,1,0] neg_lo:[0,0,1] neg_hi:[0,0,1]
	v_pk_fma_f16 v8, v8, v42, v56 op_sel:[0,0,1] op_sel_hi:[1,0,0]
	v_pk_fma_f16 v42, v9, v43, v57 op_sel:[0,0,1] op_sel_hi:[1,1,0] neg_lo:[0,0,1] neg_hi:[0,0,1]
	v_pk_fma_f16 v9, v9, v43, v57 op_sel:[0,0,1] op_sel_hi:[1,0,0]
	v_pk_fma_f16 v43, v12, v44, v58 op_sel:[0,0,1] op_sel_hi:[1,1,0] neg_lo:[0,0,1] neg_hi:[0,0,1]
	v_pk_fma_f16 v12, v12, v44, v58 op_sel:[0,0,1] op_sel_hi:[1,0,0]
	v_pk_fma_f16 v44, v13, v45, v59 op_sel:[0,0,1] op_sel_hi:[1,1,0] neg_lo:[0,0,1] neg_hi:[0,0,1]
	v_pk_fma_f16 v13, v13, v45, v59 op_sel:[0,0,1] op_sel_hi:[1,0,0]
	v_fma_f16 v2, v2, v36, -v60
	v_fmac_f16_e32 v50, v47, v36
	v_fma_f16 v3, v3, v37, -v61
	v_fmac_f16_e32 v51, v49, v37
	v_bfi_b32 v4, 0xffff, v62, v4
	v_bfi_b32 v5, 0xffff, v38, v5
	;; [unrolled: 1-line block ×8, first 2 shown]
	v_sub_f16_e32 v2, v0, v2
	v_sub_f16_e32 v36, v46, v50
	;; [unrolled: 1-line block ×4, first 2 shown]
	v_pk_add_f16 v4, v10, v4 neg_lo:[0,1] neg_hi:[0,1]
	v_pk_add_f16 v5, v11, v5 neg_lo:[0,1] neg_hi:[0,1]
	v_pk_add_f16 v6, v14, v6 neg_lo:[0,1] neg_hi:[0,1]
	v_pk_add_f16 v7, v15, v7 neg_lo:[0,1] neg_hi:[0,1]
	v_pk_add_f16 v8, v22, v8 neg_lo:[0,1] neg_hi:[0,1]
	v_pk_add_f16 v9, v23, v9 neg_lo:[0,1] neg_hi:[0,1]
	v_pk_add_f16 v12, v24, v12 neg_lo:[0,1] neg_hi:[0,1]
	v_pk_add_f16 v13, v25, v13 neg_lo:[0,1] neg_hi:[0,1]
	v_fma_f16 v0, v0, 2.0, -v2
	v_fma_f16 v38, v46, 2.0, -v36
	;; [unrolled: 1-line block ×4, first 2 shown]
	v_pk_fma_f16 v10, v10, 2.0, v4 op_sel_hi:[1,0,1] neg_lo:[0,0,1] neg_hi:[0,0,1]
	v_pk_fma_f16 v11, v11, 2.0, v5 op_sel_hi:[1,0,1] neg_lo:[0,0,1] neg_hi:[0,0,1]
	;; [unrolled: 1-line block ×8, first 2 shown]
	v_pack_b32_f16 v2, v2, v36
	v_pack_b32_f16 v3, v3, v37
	v_pack_b32_f16 v0, v0, v38
	v_pack_b32_f16 v1, v1, v39
	ds_store_2addr_b32 v35, v4, v5 offset0:64 offset1:224
	ds_store_2addr_b32 v30, v6, v7 offset1:160
	ds_store_2addr_b32 v34, v8, v9 offset0:64 offset1:224
	ds_store_2addr_b32 v29, v12, v13 offset1:160
	ds_store_2addr_b32 v26, v10, v11 offset1:160
	ds_store_2addr_b32 v32, v14, v15 offset0:64 offset1:224
	ds_store_2addr_b32 v27, v22, v23 offset1:160
	ds_store_2addr_b32 v31, v24, v25 offset0:64 offset1:224
	ds_store_2addr_b32 v33, v2, v3 offset0:64 offset1:224
	ds_store_2addr_b32 v28, v0, v1 offset1:160
	global_wb scope:SCOPE_SE
	s_wait_dscnt 0x0
	s_barrier_signal -1
	s_barrier_wait -1
	global_inv scope:SCOPE_SE
	s_and_saveexec_b32 s0, vcc_lo
	s_cbranch_execz .LBB0_21
; %bb.20:
	v_mul_lo_u32 v4, s3, v20
	v_mul_lo_u32 v5, s2, v21
	v_mad_co_u64_u32 v[0:1], null, s2, v20, 0
	v_lshlrev_b64_e32 v[2:3], 2, v[16:17]
	v_dual_mov_b32 v7, v19 :: v_dual_add_nc_u32 v6, 0xa0, v18
	v_lshl_add_u32 v34, v18, 2, 0
	v_dual_mov_b32 v9, v19 :: v_dual_add_nc_u32 v8, 0x140, v18
	v_add3_u32 v1, v1, v5, v4
	v_lshlrev_b64_e32 v[4:5], 2, v[18:19]
	v_lshlrev_b64_e32 v[6:7], 2, v[6:7]
	v_dual_mov_b32 v11, v19 :: v_dual_add_nc_u32 v10, 0x1e0, v18
	s_delay_alu instid0(VALU_DEP_4)
	v_lshlrev_b64_e32 v[0:1], 2, v[0:1]
	v_dual_mov_b32 v17, v19 :: v_dual_add_nc_u32 v14, 0x400, v34
	ds_load_2addr_b32 v[12:13], v34 offset1:160
	v_dual_mov_b32 v27, v19 :: v_dual_add_nc_u32 v16, 0x320, v18
	v_add_co_u32 v0, vcc_lo, s6, v0
	s_wait_alu 0xfffd
	v_add_co_ci_u32_e32 v1, vcc_lo, s7, v1, vcc_lo
	v_add_nc_u32_e32 v24, 0xe00, v34
	s_delay_alu instid0(VALU_DEP_3) | instskip(SKIP_1) | instid1(VALU_DEP_3)
	v_add_co_u32 v36, vcc_lo, v0, v2
	s_wait_alu 0xfffd
	v_add_co_ci_u32_e32 v37, vcc_lo, v1, v3, vcc_lo
	v_lshlrev_b64_e32 v[0:1], 2, v[8:9]
	s_delay_alu instid0(VALU_DEP_3) | instskip(SKIP_1) | instid1(VALU_DEP_3)
	v_add_co_u32 v2, vcc_lo, v36, v4
	s_wait_alu 0xfffd
	v_add_co_ci_u32_e32 v3, vcc_lo, v37, v5, vcc_lo
	v_add_co_u32 v4, vcc_lo, v36, v6
	v_lshlrev_b64_e32 v[8:9], 2, v[10:11]
	v_dual_mov_b32 v21, v19 :: v_dual_add_nc_u32 v10, 0x280, v18
	s_wait_alu 0xfffd
	v_add_co_ci_u32_e32 v5, vcc_lo, v37, v7, vcc_lo
	ds_load_2addr_b32 v[6:7], v14 offset0:64 offset1:224
	v_dual_mov_b32 v23, v19 :: v_dual_add_nc_u32 v14, 0xa00, v34
	v_add_co_u32 v0, vcc_lo, v36, v0
	v_lshlrev_b64_e32 v[10:11], 2, v[10:11]
	ds_load_2addr_b32 v[14:15], v14 offset1:160
	v_dual_mov_b32 v29, v19 :: v_dual_add_nc_u32 v20, 0x3c0, v18
	s_wait_alu 0xfffd
	v_add_co_ci_u32_e32 v1, vcc_lo, v37, v1, vcc_lo
	v_add_co_u32 v8, vcc_lo, v36, v8
	v_lshlrev_b64_e32 v[16:17], 2, v[16:17]
	ds_load_2addr_b32 v[24:25], v24 offset0:64 offset1:224
	v_add_nc_u32_e32 v22, 0x460, v18
	s_wait_alu 0xfffd
	v_add_co_ci_u32_e32 v9, vcc_lo, v37, v9, vcc_lo
	v_add_co_u32 v10, vcc_lo, v36, v10
	v_lshlrev_b64_e32 v[20:21], 2, v[20:21]
	s_wait_alu 0xfffd
	v_add_co_ci_u32_e32 v11, vcc_lo, v37, v11, vcc_lo
	v_add_co_u32 v16, vcc_lo, v36, v16
	v_lshlrev_b64_e32 v[22:23], 2, v[22:23]
	s_wait_alu 0xfffd
	v_add_co_ci_u32_e32 v17, vcc_lo, v37, v17, vcc_lo
	v_add_co_u32 v20, vcc_lo, v36, v20
	v_add_nc_u32_e32 v26, 0x500, v18
	s_wait_alu 0xfffd
	v_add_co_ci_u32_e32 v21, vcc_lo, v37, v21, vcc_lo
	v_add_co_u32 v22, vcc_lo, v36, v22
	v_add_nc_u32_e32 v28, 0x5a0, v18
	s_wait_alu 0xfffd
	v_add_co_ci_u32_e32 v23, vcc_lo, v37, v23, vcc_lo
	s_wait_dscnt 0x3
	s_clause 0x1
	global_store_b32 v[2:3], v12, off
	global_store_b32 v[4:5], v13, off
	s_wait_dscnt 0x2
	s_clause 0x1
	global_store_b32 v[0:1], v6, off
	global_store_b32 v[8:9], v7, off
	;; [unrolled: 4-line block ×4, first 2 shown]
	v_mov_b32_e32 v21, v19
	v_mov_b32_e32 v13, v19
	v_lshlrev_b64_e32 v[0:1], 2, v[26:27]
	v_dual_mov_b32 v25, v19 :: v_dual_add_nc_u32 v6, 0x640, v18
	v_mov_b32_e32 v7, v19
	v_lshlrev_b64_e32 v[4:5], 2, v[28:29]
	v_dual_mov_b32 v11, v19 :: v_dual_add_nc_u32 v10, 0x6e0, v18
	v_add_co_u32 v0, vcc_lo, v36, v0
	s_delay_alu instid0(VALU_DEP_4)
	v_lshlrev_b64_e32 v[6:7], 2, v[6:7]
	v_add_nc_u32_e32 v12, 0x780, v18
	s_wait_alu 0xfffd
	v_add_co_ci_u32_e32 v1, vcc_lo, v37, v1, vcc_lo
	v_add_co_u32 v4, vcc_lo, v36, v4
	v_lshlrev_b64_e32 v[10:11], 2, v[10:11]
	v_dual_mov_b32 v15, v19 :: v_dual_add_nc_u32 v30, 0x1400, v34
	v_add_nc_u32_e32 v14, 0x820, v18
	s_wait_alu 0xfffd
	v_add_co_ci_u32_e32 v5, vcc_lo, v37, v5, vcc_lo
	v_add_co_u32 v6, vcc_lo, v36, v6
	v_lshlrev_b64_e32 v[12:13], 2, v[12:13]
	v_add_nc_u32_e32 v20, 0x8c0, v18
	s_wait_alu 0xfffd
	v_add_co_ci_u32_e32 v7, vcc_lo, v37, v7, vcc_lo
	v_add_co_u32 v10, vcc_lo, v36, v10
	v_lshlrev_b64_e32 v[14:15], 2, v[14:15]
	v_add_nc_u32_e32 v24, 0x960, v18
	s_wait_alu 0xfffd
	v_add_co_ci_u32_e32 v11, vcc_lo, v37, v11, vcc_lo
	v_dual_mov_b32 v33, v19 :: v_dual_add_nc_u32 v8, 0x1800, v34
	v_add_co_u32 v12, vcc_lo, v36, v12
	v_lshlrev_b64_e32 v[20:21], 2, v[20:21]
	v_add_nc_u32_e32 v26, 0xa00, v18
	v_add_nc_u32_e32 v16, 0x1e00, v34
	s_wait_alu 0xfffd
	v_add_co_ci_u32_e32 v13, vcc_lo, v37, v13, vcc_lo
	ds_load_2addr_b32 v[2:3], v30 offset1:160
	v_add_co_u32 v14, vcc_lo, v36, v14
	v_lshlrev_b64_e32 v[24:25], 2, v[24:25]
	v_add_nc_u32_e32 v22, 0x2200, v34
	v_add_nc_u32_e32 v28, 0xaa0, v18
	ds_load_2addr_b32 v[8:9], v8 offset0:64 offset1:224
	s_wait_alu 0xfffd
	v_add_co_ci_u32_e32 v15, vcc_lo, v37, v15, vcc_lo
	v_add_co_u32 v20, vcc_lo, v36, v20
	v_add_nc_u32_e32 v30, 0x2800, v34
	v_lshlrev_b64_e32 v[26:27], 2, v[26:27]
	ds_load_2addr_b32 v[16:17], v16 offset1:160
	v_add_nc_u32_e32 v32, 0xb40, v18
	s_wait_alu 0xfffd
	v_add_co_ci_u32_e32 v21, vcc_lo, v37, v21, vcc_lo
	v_add_nc_u32_e32 v34, 0x2c00, v34
	ds_load_2addr_b32 v[22:23], v22 offset0:64 offset1:224
	v_add_co_u32 v24, vcc_lo, v36, v24
	v_lshlrev_b64_e32 v[28:29], 2, v[28:29]
	v_add_nc_u32_e32 v18, 0xbe0, v18
	s_wait_alu 0xfffd
	v_add_co_ci_u32_e32 v25, vcc_lo, v37, v25, vcc_lo
	ds_load_2addr_b32 v[30:31], v30 offset1:160
	v_add_co_u32 v26, vcc_lo, v36, v26
	v_lshlrev_b64_e32 v[32:33], 2, v[32:33]
	ds_load_2addr_b32 v[34:35], v34 offset0:64 offset1:224
	s_wait_alu 0xfffd
	v_add_co_ci_u32_e32 v27, vcc_lo, v37, v27, vcc_lo
	v_add_co_u32 v28, vcc_lo, v36, v28
	v_lshlrev_b64_e32 v[18:19], 2, v[18:19]
	s_wait_alu 0xfffd
	v_add_co_ci_u32_e32 v29, vcc_lo, v37, v29, vcc_lo
	v_add_co_u32 v32, vcc_lo, v36, v32
	s_wait_alu 0xfffd
	v_add_co_ci_u32_e32 v33, vcc_lo, v37, v33, vcc_lo
	v_add_co_u32 v18, vcc_lo, v36, v18
	s_wait_alu 0xfffd
	v_add_co_ci_u32_e32 v19, vcc_lo, v37, v19, vcc_lo
	s_wait_dscnt 0x5
	s_clause 0x1
	global_store_b32 v[0:1], v2, off
	global_store_b32 v[4:5], v3, off
	s_wait_dscnt 0x4
	s_clause 0x1
	global_store_b32 v[6:7], v8, off
	global_store_b32 v[10:11], v9, off
	;; [unrolled: 4-line block ×6, first 2 shown]
.LBB0_21:
	s_nop 0
	s_sendmsg sendmsg(MSG_DEALLOC_VGPRS)
	s_endpgm
	.section	.rodata,"a",@progbits
	.p2align	6, 0x0
	.amdhsa_kernel fft_rtc_fwd_len3200_factors_10_10_4_4_2_wgs_160_tpt_160_halfLds_half_op_CI_CI_unitstride_sbrr_C2R_dirReg
		.amdhsa_group_segment_fixed_size 0
		.amdhsa_private_segment_fixed_size 0
		.amdhsa_kernarg_size 104
		.amdhsa_user_sgpr_count 2
		.amdhsa_user_sgpr_dispatch_ptr 0
		.amdhsa_user_sgpr_queue_ptr 0
		.amdhsa_user_sgpr_kernarg_segment_ptr 1
		.amdhsa_user_sgpr_dispatch_id 0
		.amdhsa_user_sgpr_private_segment_size 0
		.amdhsa_wavefront_size32 1
		.amdhsa_uses_dynamic_stack 0
		.amdhsa_enable_private_segment 0
		.amdhsa_system_sgpr_workgroup_id_x 1
		.amdhsa_system_sgpr_workgroup_id_y 0
		.amdhsa_system_sgpr_workgroup_id_z 0
		.amdhsa_system_sgpr_workgroup_info 0
		.amdhsa_system_vgpr_workitem_id 0
		.amdhsa_next_free_vgpr 120
		.amdhsa_next_free_sgpr 39
		.amdhsa_reserve_vcc 1
		.amdhsa_float_round_mode_32 0
		.amdhsa_float_round_mode_16_64 0
		.amdhsa_float_denorm_mode_32 3
		.amdhsa_float_denorm_mode_16_64 3
		.amdhsa_fp16_overflow 0
		.amdhsa_workgroup_processor_mode 1
		.amdhsa_memory_ordered 1
		.amdhsa_forward_progress 0
		.amdhsa_round_robin_scheduling 0
		.amdhsa_exception_fp_ieee_invalid_op 0
		.amdhsa_exception_fp_denorm_src 0
		.amdhsa_exception_fp_ieee_div_zero 0
		.amdhsa_exception_fp_ieee_overflow 0
		.amdhsa_exception_fp_ieee_underflow 0
		.amdhsa_exception_fp_ieee_inexact 0
		.amdhsa_exception_int_div_zero 0
	.end_amdhsa_kernel
	.text
.Lfunc_end0:
	.size	fft_rtc_fwd_len3200_factors_10_10_4_4_2_wgs_160_tpt_160_halfLds_half_op_CI_CI_unitstride_sbrr_C2R_dirReg, .Lfunc_end0-fft_rtc_fwd_len3200_factors_10_10_4_4_2_wgs_160_tpt_160_halfLds_half_op_CI_CI_unitstride_sbrr_C2R_dirReg
                                        ; -- End function
	.section	.AMDGPU.csdata,"",@progbits
; Kernel info:
; codeLenInByte = 14884
; NumSgprs: 41
; NumVgprs: 120
; ScratchSize: 0
; MemoryBound: 0
; FloatMode: 240
; IeeeMode: 1
; LDSByteSize: 0 bytes/workgroup (compile time only)
; SGPRBlocks: 5
; VGPRBlocks: 14
; NumSGPRsForWavesPerEU: 41
; NumVGPRsForWavesPerEU: 120
; Occupancy: 12
; WaveLimiterHint : 1
; COMPUTE_PGM_RSRC2:SCRATCH_EN: 0
; COMPUTE_PGM_RSRC2:USER_SGPR: 2
; COMPUTE_PGM_RSRC2:TRAP_HANDLER: 0
; COMPUTE_PGM_RSRC2:TGID_X_EN: 1
; COMPUTE_PGM_RSRC2:TGID_Y_EN: 0
; COMPUTE_PGM_RSRC2:TGID_Z_EN: 0
; COMPUTE_PGM_RSRC2:TIDIG_COMP_CNT: 0
	.text
	.p2alignl 7, 3214868480
	.fill 96, 4, 3214868480
	.type	__hip_cuid_d384c0e4b3efd5af,@object ; @__hip_cuid_d384c0e4b3efd5af
	.section	.bss,"aw",@nobits
	.globl	__hip_cuid_d384c0e4b3efd5af
__hip_cuid_d384c0e4b3efd5af:
	.byte	0                               ; 0x0
	.size	__hip_cuid_d384c0e4b3efd5af, 1

	.ident	"AMD clang version 19.0.0git (https://github.com/RadeonOpenCompute/llvm-project roc-6.4.0 25133 c7fe45cf4b819c5991fe208aaa96edf142730f1d)"
	.section	".note.GNU-stack","",@progbits
	.addrsig
	.addrsig_sym __hip_cuid_d384c0e4b3efd5af
	.amdgpu_metadata
---
amdhsa.kernels:
  - .args:
      - .actual_access:  read_only
        .address_space:  global
        .offset:         0
        .size:           8
        .value_kind:     global_buffer
      - .offset:         8
        .size:           8
        .value_kind:     by_value
      - .actual_access:  read_only
        .address_space:  global
        .offset:         16
        .size:           8
        .value_kind:     global_buffer
      - .actual_access:  read_only
        .address_space:  global
        .offset:         24
        .size:           8
        .value_kind:     global_buffer
      - .actual_access:  read_only
        .address_space:  global
        .offset:         32
        .size:           8
        .value_kind:     global_buffer
      - .offset:         40
        .size:           8
        .value_kind:     by_value
      - .actual_access:  read_only
        .address_space:  global
        .offset:         48
        .size:           8
        .value_kind:     global_buffer
      - .actual_access:  read_only
        .address_space:  global
        .offset:         56
        .size:           8
        .value_kind:     global_buffer
      - .offset:         64
        .size:           4
        .value_kind:     by_value
      - .actual_access:  read_only
        .address_space:  global
        .offset:         72
        .size:           8
        .value_kind:     global_buffer
      - .actual_access:  read_only
        .address_space:  global
        .offset:         80
        .size:           8
        .value_kind:     global_buffer
      - .actual_access:  read_only
        .address_space:  global
        .offset:         88
        .size:           8
        .value_kind:     global_buffer
      - .actual_access:  write_only
        .address_space:  global
        .offset:         96
        .size:           8
        .value_kind:     global_buffer
    .group_segment_fixed_size: 0
    .kernarg_segment_align: 8
    .kernarg_segment_size: 104
    .language:       OpenCL C
    .language_version:
      - 2
      - 0
    .max_flat_workgroup_size: 160
    .name:           fft_rtc_fwd_len3200_factors_10_10_4_4_2_wgs_160_tpt_160_halfLds_half_op_CI_CI_unitstride_sbrr_C2R_dirReg
    .private_segment_fixed_size: 0
    .sgpr_count:     41
    .sgpr_spill_count: 0
    .symbol:         fft_rtc_fwd_len3200_factors_10_10_4_4_2_wgs_160_tpt_160_halfLds_half_op_CI_CI_unitstride_sbrr_C2R_dirReg.kd
    .uniform_work_group_size: 1
    .uses_dynamic_stack: false
    .vgpr_count:     120
    .vgpr_spill_count: 0
    .wavefront_size: 32
    .workgroup_processor_mode: 1
amdhsa.target:   amdgcn-amd-amdhsa--gfx1201
amdhsa.version:
  - 1
  - 2
...

	.end_amdgpu_metadata
